;; amdgpu-corpus repo=ROCm/rocFFT kind=compiled arch=gfx950 opt=O3
	.text
	.amdgcn_target "amdgcn-amd-amdhsa--gfx950"
	.amdhsa_code_object_version 6
	.protected	bluestein_single_back_len544_dim1_sp_op_CI_CI ; -- Begin function bluestein_single_back_len544_dim1_sp_op_CI_CI
	.globl	bluestein_single_back_len544_dim1_sp_op_CI_CI
	.p2align	8
	.type	bluestein_single_back_len544_dim1_sp_op_CI_CI,@function
bluestein_single_back_len544_dim1_sp_op_CI_CI: ; @bluestein_single_back_len544_dim1_sp_op_CI_CI
; %bb.0:
	s_load_dwordx4 s[8:11], s[0:1], 0x28
	v_mul_u32_u24_e32 v1, 0x788, v0
	v_lshrrev_b32_e32 v2, 16, v1
	v_mad_u64_u32 v[246:247], s[2:3], s2, 3, v[2:3]
	v_mov_b32_e32 v61, 0
	v_mov_b32_e32 v247, v61
	s_waitcnt lgkmcnt(0)
	v_cmp_gt_u64_e32 vcc, s[8:9], v[246:247]
	s_and_saveexec_b64 s[2:3], vcc
	s_cbranch_execz .LBB0_15
; %bb.1:
	v_mul_lo_u16_e32 v1, 34, v2
	s_mov_b32 s4, 0xaaaaaaab
	v_sub_u16_e32 v60, v0, v1
	v_mul_hi_u32 v0, v246, s4
	v_lshrrev_b32_e32 v0, 1, v0
	s_load_dwordx2 s[2:3], s[0:1], 0x0
	s_load_dwordx2 s[8:9], s[0:1], 0x38
	v_lshl_add_u32 v0, v0, 1, v0
	v_sub_u32_e32 v0, v246, v0
	v_mul_u32_u24_e32 v172, 0x220, v0
	v_or_b32_e32 v0, v172, v60
	v_cmp_gt_u16_e32 vcc, 32, v60
	v_lshlrev_b32_e32 v170, 3, v60
	v_lshlrev_b32_e32 v247, 3, v0
	v_or_b32_e32 v245, 32, v60
	v_or_b32_e32 v171, 64, v60
	s_and_saveexec_b64 s[12:13], vcc
	s_cbranch_execz .LBB0_3
; %bb.2:
	s_load_dwordx2 s[4:5], s[0:1], 0x18
	v_mov_b32_e32 v0, s10
	v_mov_b32_e32 v1, s11
	v_or_b32_e32 v62, 0x200, v60
	v_or_b32_e32 v41, 0x60, v60
	s_waitcnt lgkmcnt(0)
	s_load_dwordx4 s[4:7], s[4:5], 0x0
	v_or_b32_e32 v43, 0x80, v60
	v_or_b32_e32 v45, 0xa0, v60
	v_or_b32_e32 v47, 0xc0, v60
	v_or_b32_e32 v49, 0xe0, v60
	s_waitcnt lgkmcnt(0)
	v_mad_u64_u32 v[2:3], s[10:11], s6, v246, 0
	v_mad_u64_u32 v[4:5], s[10:11], s4, v60, 0
	v_mov_b32_e32 v6, v3
	v_mov_b32_e32 v8, v5
	v_mad_u64_u32 v[6:7], s[6:7], s7, v246, v[6:7]
	v_mov_b32_e32 v3, v6
	v_mad_u64_u32 v[6:7], s[6:7], s5, v60, v[8:9]
	v_mov_b32_e32 v5, v6
	v_lshl_add_u64 v[0:1], v[2:3], 3, v[0:1]
	v_lshlrev_b32_e32 v20, 3, v62
	v_mad_u64_u32 v[22:23], s[6:7], s4, v171, 0
	v_lshl_add_u64 v[14:15], v[4:5], 3, v[0:1]
	global_load_dwordx2 v[2:3], v170, s[2:3] offset:256
	global_load_dwordx2 v[4:5], v170, s[2:3] offset:512
	;; [unrolled: 1-line block ×6, first 2 shown]
	global_load_dwordx2 v[16:17], v170, s[2:3]
	global_load_dwordx2 v[18:19], v20, s[2:3]
	v_mad_u64_u32 v[20:21], s[6:7], s4, v245, 0
	v_mad_u64_u32 v[24:25], s[6:7], s4, v41, 0
	v_mad_u64_u32 v[26:27], s[6:7], s4, v43, 0
	v_mad_u64_u32 v[28:29], s[6:7], s4, v45, 0
	v_mad_u64_u32 v[30:31], s[6:7], s4, v47, 0
	v_mad_u64_u32 v[32:33], s[6:7], s4, v49, 0
	v_mov_b32_e32 v38, v23
	v_mov_b32_e32 v36, v21
	;; [unrolled: 1-line block ×7, first 2 shown]
	v_mad_u64_u32 v[38:39], s[6:7], s5, v171, v[38:39]
	v_or_b32_e32 v51, 0x100, v60
	v_mad_u64_u32 v[36:37], s[6:7], s5, v245, v[36:37]
	v_mad_u64_u32 v[40:41], s[6:7], s5, v41, v[40:41]
	;; [unrolled: 1-line block ×6, first 2 shown]
	v_mov_b32_e32 v23, v38
	v_mad_u64_u32 v[34:35], s[6:7], s4, v51, 0
	v_mov_b32_e32 v21, v36
	v_mov_b32_e32 v25, v40
	;; [unrolled: 1-line block ×6, first 2 shown]
	v_lshl_add_u64 v[22:23], v[22:23], 3, v[0:1]
	v_mov_b32_e32 v50, v35
	v_lshl_add_u64 v[20:21], v[20:21], 3, v[0:1]
	v_lshl_add_u64 v[24:25], v[24:25], 3, v[0:1]
	v_lshl_add_u64 v[26:27], v[26:27], 3, v[0:1]
	v_lshl_add_u64 v[28:29], v[28:29], 3, v[0:1]
	v_lshl_add_u64 v[30:31], v[30:31], 3, v[0:1]
	v_lshl_add_u64 v[32:33], v[32:33], 3, v[0:1]
	global_load_dwordx2 v[36:37], v[14:15], off
	global_load_dwordx2 v[38:39], v[20:21], off
	;; [unrolled: 1-line block ×8, first 2 shown]
	v_or_b32_e32 v23, 0x120, v60
	v_mad_u64_u32 v[14:15], s[6:7], s5, v51, v[50:51]
	v_mad_u64_u32 v[20:21], s[6:7], s4, v23, 0
	v_mov_b32_e32 v35, v14
	v_mov_b32_e32 v22, v21
	v_lshl_add_u64 v[14:15], v[34:35], 3, v[0:1]
	v_mad_u64_u32 v[22:23], s[6:7], s5, v23, v[22:23]
	v_or_b32_e32 v25, 0x140, v60
	v_or_b32_e32 v35, 0x160, v60
	v_mov_b32_e32 v21, v22
	v_mad_u64_u32 v[22:23], s[6:7], s4, v25, 0
	v_mad_u64_u32 v[32:33], s[6:7], s4, v35, 0
	v_mov_b32_e32 v24, v23
	v_mov_b32_e32 v34, v33
	v_mad_u64_u32 v[24:25], s[6:7], s5, v25, v[24:25]
	v_mad_u64_u32 v[34:35], s[6:7], s5, v35, v[34:35]
	v_lshl_add_u64 v[20:21], v[20:21], 3, v[0:1]
	v_mov_b32_e32 v23, v24
	v_mov_b32_e32 v33, v34
	v_lshl_add_u64 v[22:23], v[22:23], 3, v[0:1]
	global_load_dwordx2 v[24:25], v170, s[2:3] offset:1792
	global_load_dwordx2 v[26:27], v170, s[2:3] offset:2048
	;; [unrolled: 1-line block ×4, first 2 shown]
	v_lshl_add_u64 v[32:33], v[32:33], 3, v[0:1]
	global_load_dwordx2 v[34:35], v[14:15], off
	global_load_dwordx2 v[50:51], v[20:21], off
	global_load_dwordx2 v[54:55], v[22:23], off
	global_load_dwordx2 v[56:57], v[32:33], off
	v_or_b32_e32 v21, 0x180, v60
	v_mad_u64_u32 v[14:15], s[6:7], s4, v21, 0
	v_mov_b32_e32 v20, v15
	v_mad_u64_u32 v[20:21], s[6:7], s5, v21, v[20:21]
	v_or_b32_e32 v23, 0x1a0, v60
	v_mov_b32_e32 v15, v20
	v_mad_u64_u32 v[20:21], s[6:7], s4, v23, 0
	v_mov_b32_e32 v22, v21
	v_mad_u64_u32 v[22:23], s[6:7], s5, v23, v[22:23]
	v_mov_b32_e32 v21, v22
	v_lshl_add_u64 v[14:15], v[14:15], 3, v[0:1]
	v_lshl_add_u64 v[20:21], v[20:21], 3, v[0:1]
	global_load_dwordx2 v[22:23], v[14:15], off
	global_load_dwordx2 v[32:33], v[20:21], off
	v_or_b32_e32 v21, 0x1c0, v60
	v_mad_u64_u32 v[14:15], s[6:7], s4, v21, 0
	v_mov_b32_e32 v20, v15
	v_or_b32_e32 v63, 0x1e0, v60
	v_mad_u64_u32 v[20:21], s[6:7], s5, v21, v[20:21]
	v_mad_u64_u32 v[58:59], s[6:7], s4, v63, 0
	v_mov_b32_e32 v15, v20
	v_mov_b32_e32 v66, v59
	v_lshl_add_u64 v[14:15], v[14:15], 3, v[0:1]
	v_mad_u64_u32 v[66:67], s[6:7], s5, v63, v[66:67]
	v_mad_u64_u32 v[68:69], s[6:7], s4, v62, 0
	global_load_dwordx2 v[20:21], v170, s[2:3] offset:2816
	global_load_dwordx2 v[64:65], v170, s[2:3] offset:3072
	v_mov_b32_e32 v59, v66
	global_load_dwordx2 v[66:67], v170, s[2:3] offset:3328
	global_load_dwordx2 v[70:71], v170, s[2:3] offset:3584
	global_load_dwordx2 v[72:73], v[14:15], off
	v_mov_b32_e32 v14, v69
	v_mad_u64_u32 v[14:15], s[4:5], s5, v62, v[14:15]
	v_mov_b32_e32 v69, v14
	v_lshl_add_u64 v[58:59], v[58:59], 3, v[0:1]
	v_lshl_add_u64 v[0:1], v[68:69], 3, v[0:1]
	global_load_dwordx2 v[74:75], v[58:59], off
	global_load_dwordx2 v[76:77], v170, s[2:3] offset:3840
	s_waitcnt vmcnt(24)
	v_mul_f32_e32 v14, v37, v17
	global_load_dwordx2 v[0:1], v[0:1], off
	v_mul_f32_e32 v15, v36, v17
	v_fmac_f32_e32 v14, v36, v16
	v_fma_f32 v15, v37, v16, -v15
	ds_write_b64 v247, v[14:15]
	s_waitcnt vmcnt(24)
	v_mul_f32_e32 v14, v39, v3
	v_mul_f32_e32 v3, v38, v3
	v_fmac_f32_e32 v14, v38, v2
	v_fma_f32 v15, v39, v2, -v3
	s_waitcnt vmcnt(23)
	v_mul_f32_e32 v2, v41, v5
	v_mul_f32_e32 v3, v40, v5
	v_lshl_add_u32 v16, v172, 3, v170
	v_fmac_f32_e32 v2, v40, v4
	v_fma_f32 v3, v41, v4, -v3
	ds_write2_b64 v16, v[14:15], v[2:3] offset0:32 offset1:64
	s_waitcnt vmcnt(22)
	v_mul_f32_e32 v2, v43, v13
	v_mul_f32_e32 v3, v42, v13
	s_waitcnt vmcnt(21)
	v_mul_f32_e32 v4, v45, v9
	v_mul_f32_e32 v5, v44, v9
	v_fmac_f32_e32 v2, v42, v12
	v_fma_f32 v3, v43, v12, -v3
	v_fmac_f32_e32 v4, v44, v8
	v_fma_f32 v5, v45, v8, -v5
	ds_write2_b64 v16, v[2:3], v[4:5] offset0:96 offset1:128
	s_waitcnt vmcnt(20)
	v_mul_f32_e32 v2, v47, v7
	v_mul_f32_e32 v3, v46, v7
	s_waitcnt vmcnt(19)
	v_mul_f32_e32 v4, v49, v11
	v_mul_f32_e32 v5, v48, v11
	v_fmac_f32_e32 v2, v46, v6
	v_fma_f32 v3, v47, v6, -v3
	;; [unrolled: 11-line block ×3, first 2 shown]
	v_fmac_f32_e32 v4, v34, v26
	v_fma_f32 v5, v35, v26, -v5
	v_add_u32_e32 v6, 0x400, v16
	ds_write2_b64 v6, v[2:3], v[4:5] offset0:96 offset1:128
	s_waitcnt vmcnt(12)
	v_mul_f32_e32 v2, v51, v29
	v_mul_f32_e32 v3, v50, v29
	s_waitcnt vmcnt(11)
	v_mul_f32_e32 v4, v55, v31
	v_mul_f32_e32 v5, v54, v31
	v_fmac_f32_e32 v2, v50, v28
	v_fma_f32 v3, v51, v28, -v3
	v_fmac_f32_e32 v4, v54, v30
	v_fma_f32 v5, v55, v30, -v5
	v_add_u32_e32 v6, 0x800, v16
	ds_write2_b64 v6, v[2:3], v[4:5] offset0:32 offset1:64
	s_waitcnt vmcnt(7)
	v_mul_f32_e32 v2, v57, v21
	v_mul_f32_e32 v3, v56, v21
	s_waitcnt vmcnt(6)
	v_mul_f32_e32 v4, v23, v65
	v_mul_f32_e32 v5, v22, v65
	v_fmac_f32_e32 v2, v56, v20
	v_fma_f32 v3, v57, v20, -v3
	v_fmac_f32_e32 v4, v22, v64
	v_fma_f32 v5, v23, v64, -v5
	ds_write2_b64 v6, v[2:3], v[4:5] offset0:96 offset1:128
	s_waitcnt vmcnt(5)
	v_mul_f32_e32 v2, v33, v67
	v_mul_f32_e32 v3, v32, v67
	s_waitcnt vmcnt(3)
	v_mul_f32_e32 v4, v73, v71
	v_mul_f32_e32 v5, v72, v71
	v_fmac_f32_e32 v2, v32, v66
	v_fma_f32 v3, v33, v66, -v3
	v_fmac_f32_e32 v4, v72, v70
	v_fma_f32 v5, v73, v70, -v5
	ds_write2_b64 v6, v[2:3], v[4:5] offset0:160 offset1:192
	s_waitcnt vmcnt(0)
	v_mul_f32_e32 v4, v1, v19
	v_mul_f32_e32 v2, v75, v77
	;; [unrolled: 1-line block ×3, first 2 shown]
	v_fmac_f32_e32 v4, v0, v18
	v_mul_f32_e32 v0, v0, v19
	v_fmac_f32_e32 v2, v74, v76
	v_fma_f32 v3, v75, v76, -v3
	v_fma_f32 v5, v1, v18, -v0
	v_add_u32_e32 v0, 0xc00, v16
	ds_write2_b64 v0, v[2:3], v[4:5] offset0:96 offset1:128
.LBB0_3:
	s_or_b64 exec, exec, s[12:13]
	s_load_dwordx2 s[4:5], s[0:1], 0x20
	s_load_dwordx2 s[10:11], s[0:1], 0x8
	v_mov_b32_e32 v0, 0
	v_lshlrev_b32_e32 v244, 3, v172
	v_mov_b32_e32 v1, 0
	s_waitcnt lgkmcnt(0)
	s_barrier
	s_waitcnt lgkmcnt(0)
                                        ; implicit-def: $vgpr8
                                        ; implicit-def: $vgpr6
                                        ; implicit-def: $vgpr16
                                        ; implicit-def: $vgpr14
                                        ; implicit-def: $vgpr24
                                        ; implicit-def: $vgpr22
                                        ; implicit-def: $vgpr34
                                        ; implicit-def: $vgpr30
	s_and_saveexec_b64 s[0:1], vcc
	s_cbranch_execz .LBB0_5
; %bb.4:
	v_lshl_add_u32 v2, v60, 3, v244
	v_add_u32_e32 v3, 0x400, v2
	ds_read_b64 v[0:1], v247
	ds_read2_b64 v[28:31], v2 offset0:32 offset1:64
	ds_read2_b64 v[20:23], v2 offset0:96 offset1:128
	;; [unrolled: 1-line block ×4, first 2 shown]
	v_add_u32_e32 v3, 0x800, v2
	ds_read2_b64 v[8:11], v3 offset0:32 offset1:64
	ds_read2_b64 v[16:19], v3 offset0:96 offset1:128
	;; [unrolled: 1-line block ×3, first 2 shown]
	v_add_u32_e32 v2, 0xc00, v2
	ds_read2_b64 v[32:35], v2 offset0:96 offset1:128
.LBB0_5:
	s_or_b64 exec, exec, s[0:1]
	s_mov_b32 s30, 0xbeb8f4ab
	s_waitcnt lgkmcnt(0)
	v_pk_add_f32 v[72:73], v[34:35], v[28:29]
	v_pk_add_f32 v[2:3], v[28:29], v[34:35] neg_lo:[0,1] neg_hi:[0,1]
	s_mov_b32 s31, 0x3f6eb680
	v_mov_b32_e32 v37, v73
	v_mov_b32_e32 v73, v2
	s_mov_b32 s0, s31
	s_mov_b32 s1, s30
	v_mov_b32_e32 v36, v3
	v_pk_mul_f32 v[90:91], v[72:73], s[0:1]
	v_pk_add_f32 v[42:43], v[30:31], v[32:33] neg_lo:[0,1] neg_hi:[0,1]
	s_mov_b32 s0, 0xbf2c7751
	v_pk_fma_f32 v[88:89], v[36:37], s[30:31], v[90:91]
	v_pk_fma_f32 v[2:3], v[36:37], s[30:31], v[90:91] neg_lo:[0,0,1] neg_hi:[0,0,1]
	v_pk_add_f32 v[74:75], v[32:33], v[30:31]
	s_mov_b32 s34, 0x3f3d2fb0
	v_pk_mul_f32 v[38:39], v[42:43], s[0:1] op_sel_hi:[1,0]
	v_mov_b32_e32 v2, v88
	v_pk_fma_f32 v[92:93], v[74:75], s[34:35], v[38:39] op_sel:[0,0,1] op_sel_hi:[1,0,0]
	v_pk_fma_f32 v[94:95], v[74:75], s[34:35], v[38:39] op_sel:[0,0,1] op_sel_hi:[1,0,0] neg_lo:[0,0,1] neg_hi:[0,0,1]
	v_pk_add_f32 v[70:71], v[20:21], v[26:27] neg_lo:[0,1] neg_hi:[0,1]
	v_pk_add_f32 v[2:3], v[2:3], v[0:1]
	v_mov_b32_e32 v38, v92
	v_mov_b32_e32 v39, v95
	s_mov_b32 s12, 0xbf65296c
	v_pk_add_f32 v[66:67], v[26:27], v[20:21]
	v_pk_add_f32 v[2:3], v[38:39], v[2:3]
	s_mov_b32 s28, 0x3ee437d1
	v_pk_mul_f32 v[38:39], v[70:71], s[12:13] op_sel_hi:[1,0]
	v_pk_add_f32 v[64:65], v[22:23], v[24:25] neg_lo:[0,1] neg_hi:[0,1]
	v_pk_fma_f32 v[96:97], v[66:67], s[28:29], v[38:39] op_sel:[0,0,1] op_sel_hi:[1,0,0]
	v_pk_fma_f32 v[98:99], v[66:67], s[28:29], v[38:39] op_sel:[0,0,1] op_sel_hi:[1,0,0] neg_lo:[0,0,1] neg_hi:[0,0,1]
	v_mov_b32_e32 v38, v96
	v_mov_b32_e32 v39, v99
	s_mov_b32 s6, 0xbf7ee86f
	v_pk_add_f32 v[56:57], v[24:25], v[22:23]
	v_pk_add_f32 v[2:3], v[38:39], v[2:3]
	s_mov_b32 s26, 0x3dbcf732
	v_pk_mul_f32 v[38:39], v[64:65], s[6:7] op_sel_hi:[1,0]
	v_pk_add_f32 v[54:55], v[12:13], v[18:19] neg_lo:[0,1] neg_hi:[0,1]
	v_pk_fma_f32 v[100:101], v[56:57], s[26:27], v[38:39] op_sel:[0,0,1] op_sel_hi:[1,0,0]
	v_pk_fma_f32 v[102:103], v[56:57], s[26:27], v[38:39] op_sel:[0,0,1] op_sel_hi:[1,0,0] neg_lo:[0,0,1] neg_hi:[0,0,1]
	v_mov_b32_e32 v38, v100
	v_mov_b32_e32 v39, v103
	s_mov_b32 s18, 0xbf763a35
	v_pk_add_f32 v[52:53], v[18:19], v[12:13]
	v_pk_add_f32 v[2:3], v[38:39], v[2:3]
	s_mov_b32 s36, 0xbe8c1d8e
	v_pk_mul_f32 v[38:39], v[54:55], s[18:19] op_sel_hi:[1,0]
	s_mov_b32 s16, 0xbf4c4adb
	v_pk_fma_f32 v[104:105], v[52:53], s[36:37], v[38:39] op_sel:[0,0,1] op_sel_hi:[1,0,0]
	v_pk_fma_f32 v[106:107], v[52:53], s[36:37], v[38:39] op_sel:[0,0,1] op_sel_hi:[1,0,0] neg_lo:[0,0,1] neg_hi:[0,0,1]
	v_mov_b32_e32 v38, v104
	v_mov_b32_e32 v39, v107
	v_pk_add_f32 v[78:79], v[14:15], v[16:17] neg_lo:[0,1] neg_hi:[0,1]
	v_pk_add_f32 v[2:3], v[38:39], v[2:3]
	s_mov_b32 s40, 0xbf1a4643
	v_pk_add_f32 v[76:77], v[16:17], v[14:15]
	v_pk_mul_f32 v[38:39], v[78:79], s[16:17] op_sel_hi:[1,0]
	s_mov_b32 s24, 0xbf06c442
	v_pk_fma_f32 v[108:109], v[76:77], s[40:41], v[38:39] op_sel:[0,0,1] op_sel_hi:[1,0,0]
	v_pk_fma_f32 v[110:111], v[76:77], s[40:41], v[38:39] op_sel:[0,0,1] op_sel_hi:[1,0,0] neg_lo:[0,0,1] neg_hi:[0,0,1]
	v_mov_b32_e32 v38, v108
	v_mov_b32_e32 v39, v111
	v_pk_add_f32 v[82:83], v[4:5], v[10:11] neg_lo:[0,1] neg_hi:[0,1]
	v_pk_add_f32 v[2:3], v[38:39], v[2:3]
	s_mov_b32 s42, 0xbf59a7d5
	v_pk_add_f32 v[80:81], v[10:11], v[4:5]
	;; [unrolled: 10-line block ×3, first 2 shown]
	v_pk_mul_f32 v[38:39], v[86:87], s[20:21] op_sel_hi:[1,0]
	v_mul_lo_u16_e32 v62, 17, v60
	v_pk_fma_f32 v[116:117], v[84:85], s[46:47], v[38:39] op_sel:[0,0,1] op_sel_hi:[1,0,0]
	v_pk_fma_f32 v[118:119], v[84:85], s[46:47], v[38:39] op_sel:[0,0,1] op_sel_hi:[1,0,0] neg_lo:[0,0,1] neg_hi:[0,0,1]
	v_mov_b32_e32 v38, v116
	v_mov_b32_e32 v39, v119
	v_pk_add_f32 v[2:3], v[38:39], v[2:3]
	s_barrier
	s_and_saveexec_b64 s[14:15], vcc
	s_cbranch_execz .LBB0_7
; %bb.6:
	v_pk_add_f32 v[28:29], v[28:29], v[0:1]
	v_pk_mul_f32 v[120:121], v[36:37], s[30:31]
	v_pk_add_f32 v[28:29], v[30:31], v[28:29]
	v_pk_add_f32 v[90:91], v[90:91], v[120:121] neg_lo:[0,1] neg_hi:[0,1]
	v_pk_add_f32 v[20:21], v[20:21], v[28:29]
	v_mov_b32_e32 v91, v89
	v_pk_add_f32 v[20:21], v[22:23], v[20:21]
	v_mov_b32_e32 v95, v93
	;; [unrolled: 2-line block ×5, first 2 shown]
	v_pk_add_f32 v[4:5], v[6:7], v[4:5]
	v_pk_add_f32 v[6:7], v[90:91], v[0:1]
	;; [unrolled: 1-line block ×11, first 2 shown]
	v_mov_b32_e32 v111, v109
	v_pk_add_f32 v[4:5], v[26:27], v[4:5]
	v_pk_add_f32 v[6:7], v[110:111], v[6:7]
	v_mov_b32_e32 v115, v113
	s_mov_b32 s35, s0
	v_pk_add_f32 v[4:5], v[32:33], v[4:5]
	v_pk_add_f32 v[6:7], v[114:115], v[6:7]
	v_mov_b32_e32 v119, v117
	v_pk_mul_f32 v[46:47], v[72:73], s[34:35]
	s_mov_b32 s1, s34
	v_add_lshl_u32 v173, v172, v62, 3
	v_pk_add_f32 v[4:5], v[34:35], v[4:5]
	v_pk_add_f32 v[6:7], v[118:119], v[6:7]
	v_mov_b32_e32 v39, v75
	v_mov_b32_e32 v75, v42
	s_mov_b32 s27, s6
	ds_write2_b64 v173, v[4:5], v[6:7] offset1:1
	v_pk_fma_f32 v[6:7], v[36:37], s[0:1], v[46:47] neg_lo:[1,0,0] neg_hi:[1,0,0]
	v_pk_fma_f32 v[4:5], v[36:37], s[0:1], v[46:47]
	v_mov_b32_e32 v112, v43
	v_mov_b32_e32 v38, v43
	s_mov_b32 s7, s26
	v_pk_mul_f32 v[44:45], v[74:75], s[26:27]
	v_mov_b32_e32 v7, v5
	v_pk_add_f32 v[8:9], v[6:7], v[0:1]
	v_pk_fma_f32 v[10:11], v[112:113], s[6:7], v[44:45] neg_lo:[1,0,0] neg_hi:[1,0,0]
	v_pk_fma_f32 v[6:7], v[38:39], s[6:7], v[44:45]
	s_mov_b32 s17, s40
	v_mov_b32_e32 v11, v7
	s_mov_b32 s41, s16
	v_pk_add_f32 v[12:13], v[10:11], v[8:9]
	v_pk_mul_f32 v[10:11], v[70:71], s[16:17] op_sel_hi:[1,0]
	s_mov_b32 s21, s46
	v_pk_fma_f32 v[8:9], v[66:67], s[40:41], v[10:11] op_sel:[0,0,1] op_sel_hi:[1,0,0] neg_lo:[0,0,1] neg_hi:[0,0,1]
	v_pk_fma_f32 v[10:11], v[66:67], s[40:41], v[10:11] op_sel:[0,0,1] op_sel_hi:[1,0,0]
	v_mov_b32_e32 v14, v8
	v_mov_b32_e32 v15, v11
	s_mov_b32 s47, s20
	v_pk_add_f32 v[16:17], v[14:15], v[12:13]
	v_pk_mul_f32 v[14:15], v[64:65], s[20:21] op_sel_hi:[1,0]
	s_mov_b32 s22, 0x3f06c442
	v_pk_fma_f32 v[12:13], v[56:57], s[46:47], v[14:15] op_sel:[0,0,1] op_sel_hi:[1,0,0] neg_lo:[0,0,1] neg_hi:[0,0,1]
	v_pk_fma_f32 v[14:15], v[56:57], s[46:47], v[14:15] op_sel:[0,0,1] op_sel_hi:[1,0,0]
	s_mov_b32 s23, s42
	s_mov_b32 s43, s22
	v_mov_b32_e32 v18, v12
	v_mov_b32_e32 v19, v15
	v_pk_mul_f32 v[68:69], v[74:75], s[42:43]
	s_mov_b32 s43, s24
	v_pk_add_f32 v[20:21], v[18:19], v[16:17]
	v_pk_mul_f32 v[18:19], v[54:55], s[22:23] op_sel_hi:[1,0]
	s_mov_b32 s37, s18
	v_pk_fma_f32 v[16:17], v[52:53], s[42:43], v[18:19] op_sel:[0,0,1] op_sel_hi:[1,0,0] neg_lo:[0,0,1] neg_hi:[0,0,1]
	v_pk_fma_f32 v[18:19], v[52:53], s[42:43], v[18:19] op_sel:[0,0,1] op_sel_hi:[1,0,0]
	s_mov_b32 s38, 0x3f763a35
	s_mov_b32 s39, s36
	v_mov_b32_e32 v22, v16
	v_mov_b32_e32 v23, v19
	v_pk_mul_f32 v[58:59], v[72:73], s[36:37]
	;; [unrolled: 11-line block ×3, first 2 shown]
	s_mov_b32 s29, s44
	v_pk_add_f32 v[28:29], v[26:27], v[24:25]
	v_pk_mul_f32 v[26:27], v[82:83], s[44:45] op_sel_hi:[1,0]
	s_mov_b32 s48, 0x3eb8f4ab
	v_pk_fma_f32 v[24:25], v[80:81], s[28:29], v[26:27] op_sel:[0,0,1] op_sel_hi:[1,0,0] neg_lo:[0,0,1] neg_hi:[0,0,1]
	v_pk_fma_f32 v[26:27], v[80:81], s[28:29], v[26:27] op_sel:[0,0,1] op_sel_hi:[1,0,0]
	s_mov_b32 s49, s31
	v_mov_b32_e32 v30, v24
	v_mov_b32_e32 v31, v27
	v_pk_add_f32 v[32:33], v[30:31], v[28:29]
	s_mov_b32 s52, s31
	v_pk_mul_f32 v[30:31], v[86:87], s[48:49] op_sel_hi:[1,0]
	s_mov_b32 s13, s28
	v_pk_fma_f32 v[28:29], v[84:85], s[52:53], v[30:31] op_sel:[0,0,1] op_sel_hi:[1,0,0] neg_lo:[0,0,1] neg_hi:[0,0,1]
	v_pk_fma_f32 v[30:31], v[84:85], s[52:53], v[30:31] op_sel:[0,0,1] op_sel_hi:[1,0,0]
	v_mov_b32_e32 v34, v28
	v_mov_b32_e32 v35, v31
	v_pk_add_f32 v[114:115], v[34:35], v[32:33]
	v_pk_fma_f32 v[34:35], v[36:37], s[12:13], v[40:41] neg_lo:[1,0,0] neg_hi:[1,0,0]
	v_pk_fma_f32 v[32:33], v[36:37], s[12:13], v[40:41]
	v_pk_mul_f32 v[42:43], v[74:75], s[40:41]
	v_mov_b32_e32 v35, v33
	s_mov_b32 s50, 0x3e3c28d5
	v_pk_add_f32 v[88:89], v[34:35], v[0:1]
	v_pk_fma_f32 v[92:93], v[112:113], s[16:17], v[42:43] neg_lo:[1,0,0] neg_hi:[1,0,0]
	v_pk_fma_f32 v[34:35], v[38:39], s[16:17], v[42:43]
	v_pk_mul_f32 v[90:91], v[70:71], s[50:51] op_sel_hi:[1,0]
	v_mov_b32_e32 v93, v35
	v_pk_add_f32 v[92:93], v[92:93], v[88:89]
	v_pk_fma_f32 v[88:89], v[66:67], s[46:47], v[90:91] op_sel:[0,0,1] op_sel_hi:[1,0,0] neg_lo:[0,0,1] neg_hi:[0,0,1]
	v_pk_fma_f32 v[90:91], v[66:67], s[46:47], v[90:91] op_sel:[0,0,1] op_sel_hi:[1,0,0]
	v_pk_mul_f32 v[94:95], v[64:65], s[38:39] op_sel_hi:[1,0]
	v_mov_b32_e32 v96, v88
	v_mov_b32_e32 v97, v91
	s_mov_b32 s50, 0x3f2c7751
	v_pk_add_f32 v[96:97], v[96:97], v[92:93]
	v_pk_fma_f32 v[92:93], v[56:57], s[36:37], v[94:95] op_sel:[0,0,1] op_sel_hi:[1,0,0] neg_lo:[0,0,1] neg_hi:[0,0,1]
	v_pk_fma_f32 v[94:95], v[56:57], s[36:37], v[94:95] op_sel:[0,0,1] op_sel_hi:[1,0,0]
	v_pk_mul_f32 v[98:99], v[54:55], s[50:51] op_sel_hi:[1,0]
	v_mov_b32_e32 v100, v92
	v_mov_b32_e32 v101, v95
	v_pk_add_f32 v[100:101], v[100:101], v[96:97]
	v_pk_fma_f32 v[96:97], v[52:53], s[34:35], v[98:99] op_sel:[0,0,1] op_sel_hi:[1,0,0] neg_lo:[0,0,1] neg_hi:[0,0,1]
	v_pk_fma_f32 v[98:99], v[52:53], s[34:35], v[98:99] op_sel:[0,0,1] op_sel_hi:[1,0,0]
	v_pk_mul_f32 v[102:103], v[78:79], s[30:31] op_sel_hi:[1,0]
	v_mov_b32_e32 v104, v96
	v_mov_b32_e32 v105, v99
	;; [unrolled: 6-line block ×3, first 2 shown]
	s_mov_b32 s25, s42
	v_pk_add_f32 v[108:109], v[108:109], v[104:105]
	v_pk_fma_f32 v[104:105], v[80:81], s[26:27], v[106:107] op_sel:[0,0,1] op_sel_hi:[1,0,0] neg_lo:[0,0,1] neg_hi:[0,0,1]
	v_pk_fma_f32 v[106:107], v[80:81], s[26:27], v[106:107] op_sel:[0,0,1] op_sel_hi:[1,0,0]
	v_pk_mul_f32 v[110:111], v[86:87], s[24:25] op_sel_hi:[1,0]
	v_mov_b32_e32 v116, v104
	v_mov_b32_e32 v117, v107
	v_pk_add_f32 v[116:117], v[116:117], v[108:109]
	v_pk_fma_f32 v[108:109], v[84:85], s[42:43], v[110:111] op_sel:[0,0,1] op_sel_hi:[1,0,0] neg_lo:[0,0,1] neg_hi:[0,0,1]
	v_pk_fma_f32 v[110:111], v[84:85], s[42:43], v[110:111] op_sel:[0,0,1] op_sel_hi:[1,0,0]
	v_mov_b32_e32 v118, v108
	v_mov_b32_e32 v119, v111
	v_pk_mul_f32 v[48:49], v[72:73], s[26:27]
	v_pk_add_f32 v[116:117], v[118:119], v[116:117]
	ds_write2_b64 v173, v[114:115], v[116:117] offset0:2 offset1:3
	v_pk_fma_f32 v[116:117], v[36:37], s[6:7], v[48:49] neg_lo:[1,0,0] neg_hi:[1,0,0]
	v_pk_fma_f32 v[114:115], v[36:37], s[6:7], v[48:49]
	v_pk_mul_f32 v[50:51], v[74:75], s[46:47]
	v_mov_b32_e32 v117, v115
	v_pk_add_f32 v[118:119], v[116:117], v[0:1]
	v_pk_fma_f32 v[120:121], v[112:113], s[20:21], v[50:51] neg_lo:[1,0,0] neg_hi:[1,0,0]
	v_pk_fma_f32 v[116:117], v[38:39], s[20:21], v[50:51]
	s_mov_b32 s56, 0x3f4c4adb
	v_mov_b32_e32 v121, v117
	v_pk_add_f32 v[122:123], v[120:121], v[118:119]
	v_pk_mul_f32 v[120:121], v[70:71], s[38:39] op_sel_hi:[1,0]
	s_mov_b32 s19, s36
	v_pk_fma_f32 v[118:119], v[66:67], s[36:37], v[120:121] op_sel:[0,0,1] op_sel_hi:[1,0,0] neg_lo:[0,0,1] neg_hi:[0,0,1]
	v_pk_fma_f32 v[120:121], v[66:67], s[36:37], v[120:121] op_sel:[0,0,1] op_sel_hi:[1,0,0]
	v_mov_b32_e32 v124, v118
	v_mov_b32_e32 v125, v121
	v_pk_add_f32 v[126:127], v[124:125], v[122:123]
	v_pk_mul_f32 v[124:125], v[64:65], s[48:49] op_sel_hi:[1,0]
	v_pk_fma_f32 v[148:149], v[112:113], s[22:23], v[68:69] neg_lo:[1,0,0] neg_hi:[1,0,0]
	v_pk_fma_f32 v[122:123], v[56:57], s[52:53], v[124:125] op_sel:[0,0,1] op_sel_hi:[1,0,0] neg_lo:[0,0,1] neg_hi:[0,0,1]
	v_pk_fma_f32 v[124:125], v[56:57], s[52:53], v[124:125] op_sel:[0,0,1] op_sel_hi:[1,0,0]
	v_mov_b32_e32 v128, v122
	v_mov_b32_e32 v129, v125
	v_pk_add_f32 v[130:131], v[128:129], v[126:127]
	v_pk_mul_f32 v[128:129], v[54:55], s[12:13] op_sel_hi:[1,0]
	s_mov_b32 s54, 0x3f7ee86f
	v_pk_fma_f32 v[126:127], v[52:53], s[28:29], v[128:129] op_sel:[0,0,1] op_sel_hi:[1,0,0] neg_lo:[0,0,1] neg_hi:[0,0,1]
	v_pk_fma_f32 v[128:129], v[52:53], s[28:29], v[128:129] op_sel:[0,0,1] op_sel_hi:[1,0,0]
	v_mov_b32_e32 v132, v126
	v_mov_b32_e32 v133, v129
	v_pk_add_f32 v[134:135], v[132:133], v[130:131]
	v_pk_mul_f32 v[132:133], v[78:79], s[24:25] op_sel_hi:[1,0]
	v_pk_mul_f32 v[180:181], v[74:75], s[36:37]
	v_pk_fma_f32 v[130:131], v[76:77], s[42:43], v[132:133] op_sel:[0,0,1] op_sel_hi:[1,0,0] neg_lo:[0,0,1] neg_hi:[0,0,1]
	v_pk_fma_f32 v[132:133], v[76:77], s[42:43], v[132:133] op_sel:[0,0,1] op_sel_hi:[1,0,0]
	v_mov_b32_e32 v136, v130
	v_mov_b32_e32 v137, v133
	v_pk_add_f32 v[138:139], v[136:137], v[134:135]
	v_pk_mul_f32 v[136:137], v[82:83], s[56:57] op_sel_hi:[1,0]
	v_pk_fma_f32 v[182:183], v[112:113], s[38:39], v[180:181] neg_lo:[1,0,0] neg_hi:[1,0,0]
	v_pk_fma_f32 v[134:135], v[80:81], s[40:41], v[136:137] op_sel:[0,0,1] op_sel_hi:[1,0,0] neg_lo:[0,0,1] neg_hi:[0,0,1]
	v_pk_fma_f32 v[136:137], v[80:81], s[40:41], v[136:137] op_sel:[0,0,1] op_sel_hi:[1,0,0]
	v_mov_b32_e32 v140, v134
	v_mov_b32_e32 v141, v137
	v_pk_add_f32 v[142:143], v[140:141], v[138:139]
	v_pk_mul_f32 v[140:141], v[86:87], s[50:51] op_sel_hi:[1,0]
	v_pk_fma_f32 v[184:185], v[38:39], s[38:39], v[180:181]
	v_pk_fma_f32 v[138:139], v[84:85], s[34:35], v[140:141] op_sel:[0,0,1] op_sel_hi:[1,0,0] neg_lo:[0,0,1] neg_hi:[0,0,1]
	v_pk_fma_f32 v[140:141], v[84:85], s[34:35], v[140:141] op_sel:[0,0,1] op_sel_hi:[1,0,0]
	v_mov_b32_e32 v144, v138
	v_mov_b32_e32 v145, v141
	v_pk_add_f32 v[174:175], v[144:145], v[142:143]
	v_pk_fma_f32 v[144:145], v[36:37], s[18:19], v[58:59] neg_lo:[1,0,0] neg_hi:[1,0,0]
	v_pk_fma_f32 v[142:143], v[36:37], s[18:19], v[58:59]
	v_mov_b32_e32 v183, v185
	v_mov_b32_e32 v145, v143
	v_pk_add_f32 v[146:147], v[144:145], v[0:1]
	v_pk_fma_f32 v[144:145], v[38:39], s[22:23], v[68:69]
	v_pk_mul_f32 v[214:215], v[74:75], s[28:29]
	v_mov_b32_e32 v149, v145
	v_pk_add_f32 v[150:151], v[148:149], v[146:147]
	v_pk_mul_f32 v[148:149], v[70:71], s[50:51] op_sel_hi:[1,0]
	v_pk_fma_f32 v[216:217], v[112:113], s[44:45], v[214:215] neg_lo:[1,0,0] neg_hi:[1,0,0]
	v_pk_fma_f32 v[146:147], v[66:67], s[34:35], v[148:149] op_sel:[0,0,1] op_sel_hi:[1,0,0] neg_lo:[0,0,1] neg_hi:[0,0,1]
	v_pk_fma_f32 v[148:149], v[66:67], s[34:35], v[148:149] op_sel:[0,0,1] op_sel_hi:[1,0,0]
	v_mov_b32_e32 v152, v146
	v_mov_b32_e32 v153, v149
	v_pk_add_f32 v[154:155], v[152:153], v[150:151]
	v_pk_mul_f32 v[152:153], v[64:65], s[12:13] op_sel_hi:[1,0]
	v_pk_fma_f32 v[218:219], v[38:39], s[44:45], v[214:215]
	v_pk_fma_f32 v[150:151], v[56:57], s[28:29], v[152:153] op_sel:[0,0,1] op_sel_hi:[1,0,0] neg_lo:[0,0,1] neg_hi:[0,0,1]
	v_pk_fma_f32 v[152:153], v[56:57], s[28:29], v[152:153] op_sel:[0,0,1] op_sel_hi:[1,0,0]
	v_mov_b32_e32 v156, v150
	v_mov_b32_e32 v157, v153
	v_pk_add_f32 v[158:159], v[156:157], v[154:155]
	v_pk_mul_f32 v[156:157], v[54:55], s[20:21] op_sel_hi:[1,0]
	v_mov_b32_e32 v217, v219
	v_pk_fma_f32 v[154:155], v[52:53], s[46:47], v[156:157] op_sel:[0,0,1] op_sel_hi:[1,0,0] neg_lo:[0,0,1] neg_hi:[0,0,1]
	v_pk_fma_f32 v[156:157], v[52:53], s[46:47], v[156:157] op_sel:[0,0,1] op_sel_hi:[1,0,0]
	v_mov_b32_e32 v160, v154
	v_mov_b32_e32 v161, v157
	v_pk_add_f32 v[162:163], v[160:161], v[158:159]
	v_pk_mul_f32 v[160:161], v[78:79], s[54:55] op_sel_hi:[1,0]
	v_pk_fma_f32 v[40:41], v[36:37], s[12:13], v[40:41] neg_lo:[0,0,1] neg_hi:[0,0,1]
	v_pk_fma_f32 v[158:159], v[76:77], s[26:27], v[160:161] op_sel:[0,0,1] op_sel_hi:[1,0,0] neg_lo:[0,0,1] neg_hi:[0,0,1]
	v_pk_fma_f32 v[160:161], v[76:77], s[26:27], v[160:161] op_sel:[0,0,1] op_sel_hi:[1,0,0]
	v_mov_b32_e32 v164, v158
	v_mov_b32_e32 v165, v161
	v_pk_add_f32 v[166:167], v[164:165], v[162:163]
	v_pk_mul_f32 v[164:165], v[82:83], s[30:31] op_sel_hi:[1,0]
	v_mov_b32_e32 v33, v41
	v_pk_fma_f32 v[162:163], v[80:81], s[52:53], v[164:165] op_sel:[0,0,1] op_sel_hi:[1,0,0] neg_lo:[0,0,1] neg_hi:[0,0,1]
	v_pk_fma_f32 v[164:165], v[80:81], s[52:53], v[164:165] op_sel:[0,0,1] op_sel_hi:[1,0,0]
	v_mov_b32_e32 v168, v162
	v_mov_b32_e32 v169, v165
	v_pk_add_f32 v[176:177], v[168:169], v[166:167]
	v_pk_mul_f32 v[168:169], v[86:87], s[16:17] op_sel_hi:[1,0]
	v_pk_fma_f32 v[40:41], v[38:39], s[16:17], v[42:43] neg_lo:[0,0,1] neg_hi:[0,0,1]
	v_pk_fma_f32 v[166:167], v[84:85], s[40:41], v[168:169] op_sel:[0,0,1] op_sel_hi:[1,0,0] neg_lo:[0,0,1] neg_hi:[0,0,1]
	v_pk_fma_f32 v[168:169], v[84:85], s[40:41], v[168:169] op_sel:[0,0,1] op_sel_hi:[1,0,0]
	v_mov_b32_e32 v178, v166
	v_mov_b32_e32 v179, v169
	v_pk_add_f32 v[176:177], v[178:179], v[176:177]
	ds_write2_b64 v173, v[174:175], v[176:177] offset0:4 offset1:5
	v_pk_mul_f32 v[174:175], v[72:73], s[40:41]
	v_pk_add_f32 v[32:33], v[32:33], v[0:1]
	v_pk_fma_f32 v[176:177], v[36:37], s[16:17], v[174:175] neg_lo:[1,0,0] neg_hi:[1,0,0]
	v_pk_fma_f32 v[178:179], v[36:37], s[16:17], v[174:175]
	v_mov_b32_e32 v35, v41
	v_mov_b32_e32 v177, v179
	v_pk_add_f32 v[176:177], v[176:177], v[0:1]
	v_pk_fma_f32 v[48:49], v[36:37], s[6:7], v[48:49] neg_lo:[0,0,1] neg_hi:[0,0,1]
	v_pk_add_f32 v[176:177], v[182:183], v[176:177]
	v_pk_mul_f32 v[182:183], v[70:71], s[30:31] op_sel_hi:[1,0]
	v_pk_add_f32 v[32:33], v[34:35], v[32:33]
	v_pk_fma_f32 v[186:187], v[66:67], s[52:53], v[182:183] op_sel:[0,0,1] op_sel_hi:[1,0,0] neg_lo:[0,0,1] neg_hi:[0,0,1]
	v_pk_fma_f32 v[182:183], v[66:67], s[52:53], v[182:183] op_sel:[0,0,1] op_sel_hi:[1,0,0]
	v_mov_b32_e32 v188, v186
	v_mov_b32_e32 v189, v183
	v_pk_add_f32 v[176:177], v[188:189], v[176:177]
	v_pk_mul_f32 v[188:189], v[64:65], s[24:25] op_sel_hi:[1,0]
	v_mov_b32_e32 v183, v187
	v_pk_fma_f32 v[190:191], v[56:57], s[42:43], v[188:189] op_sel:[0,0,1] op_sel_hi:[1,0,0] neg_lo:[0,0,1] neg_hi:[0,0,1]
	v_pk_fma_f32 v[188:189], v[56:57], s[42:43], v[188:189] op_sel:[0,0,1] op_sel_hi:[1,0,0]
	v_mov_b32_e32 v192, v190
	v_mov_b32_e32 v193, v189
	v_pk_add_f32 v[176:177], v[192:193], v[176:177]
	v_pk_mul_f32 v[192:193], v[54:55], s[54:55] op_sel_hi:[1,0]
	v_mov_b32_e32 v189, v191
	;; [unrolled: 7-line block ×5, first 2 shown]
	v_pk_fma_f32 v[206:207], v[84:85], s[28:29], v[204:205] op_sel:[0,0,1] op_sel_hi:[1,0,0] neg_lo:[0,0,1] neg_hi:[0,0,1]
	v_pk_fma_f32 v[204:205], v[84:85], s[28:29], v[204:205] op_sel:[0,0,1] op_sel_hi:[1,0,0]
	v_mov_b32_e32 v208, v206
	v_mov_b32_e32 v209, v205
	v_pk_add_f32 v[176:177], v[208:209], v[176:177]
	v_pk_mul_f32 v[208:209], v[72:73], s[42:43]
	v_pk_mul_f32 v[72:73], v[72:73], s[46:47]
	v_pk_fma_f32 v[210:211], v[36:37], s[24:25], v[208:209] neg_lo:[1,0,0] neg_hi:[1,0,0]
	v_pk_fma_f32 v[212:213], v[36:37], s[24:25], v[208:209]
	v_mov_b32_e32 v205, v207
	v_mov_b32_e32 v211, v213
	v_pk_add_f32 v[210:211], v[210:211], v[0:1]
	v_pk_fma_f32 v[34:35], v[36:37], s[0:1], v[46:47] neg_lo:[0,0,1] neg_hi:[0,0,1]
	v_pk_add_f32 v[210:211], v[216:217], v[210:211]
	v_pk_mul_f32 v[216:217], v[70:71], s[6:7] op_sel_hi:[1,0]
	v_pk_mul_f32 v[70:71], v[70:71], s[24:25] op_sel_hi:[1,0]
	v_pk_fma_f32 v[220:221], v[66:67], s[26:27], v[216:217] op_sel:[0,0,1] op_sel_hi:[1,0,0] neg_lo:[0,0,1] neg_hi:[0,0,1]
	v_pk_fma_f32 v[216:217], v[66:67], s[26:27], v[216:217] op_sel:[0,0,1] op_sel_hi:[1,0,0]
	v_mov_b32_e32 v222, v220
	v_mov_b32_e32 v223, v217
	v_pk_add_f32 v[210:211], v[222:223], v[210:211]
	v_pk_mul_f32 v[222:223], v[64:65], s[56:57] op_sel_hi:[1,0]
	v_pk_mul_f32 v[64:65], v[64:65], s[50:51] op_sel_hi:[1,0]
	v_pk_fma_f32 v[224:225], v[56:57], s[40:41], v[222:223] op_sel:[0,0,1] op_sel_hi:[1,0,0] neg_lo:[0,0,1] neg_hi:[0,0,1]
	v_pk_fma_f32 v[222:223], v[56:57], s[40:41], v[222:223] op_sel:[0,0,1] op_sel_hi:[1,0,0]
	v_mov_b32_e32 v226, v224
	v_mov_b32_e32 v227, v223
	v_pk_add_f32 v[210:211], v[226:227], v[210:211]
	v_pk_mul_f32 v[226:227], v[54:55], s[30:31] op_sel_hi:[1,0]
	s_mov_b32 s30, s31
	v_pk_fma_f32 v[228:229], v[52:53], s[52:53], v[226:227] op_sel:[0,0,1] op_sel_hi:[1,0,0] neg_lo:[0,0,1] neg_hi:[0,0,1]
	v_pk_fma_f32 v[226:227], v[52:53], s[52:53], v[226:227] op_sel:[0,0,1] op_sel_hi:[1,0,0]
	v_mov_b32_e32 v230, v228
	v_mov_b32_e32 v231, v227
	v_pk_add_f32 v[210:211], v[230:231], v[210:211]
	v_pk_mul_f32 v[230:231], v[78:79], s[20:21] op_sel_hi:[1,0]
	s_mov_b32 s31, s48
	v_pk_fma_f32 v[232:233], v[76:77], s[46:47], v[230:231] op_sel:[0,0,1] op_sel_hi:[1,0,0] neg_lo:[0,0,1] neg_hi:[0,0,1]
	v_pk_fma_f32 v[230:231], v[76:77], s[46:47], v[230:231] op_sel:[0,0,1] op_sel_hi:[1,0,0]
	v_mov_b32_e32 v234, v232
	v_mov_b32_e32 v235, v231
	v_pk_add_f32 v[210:211], v[234:235], v[210:211]
	v_pk_mul_f32 v[234:235], v[82:83], s[50:51] op_sel_hi:[1,0]
	v_pk_mul_f32 v[74:75], v[74:75], s[30:31]
	v_pk_fma_f32 v[236:237], v[80:81], s[34:35], v[234:235] op_sel:[0,0,1] op_sel_hi:[1,0,0] neg_lo:[0,0,1] neg_hi:[0,0,1]
	v_pk_fma_f32 v[234:235], v[80:81], s[34:35], v[234:235] op_sel:[0,0,1] op_sel_hi:[1,0,0]
	v_mov_b32_e32 v238, v236
	v_mov_b32_e32 v239, v235
	v_pk_add_f32 v[210:211], v[238:239], v[210:211]
	v_pk_mul_f32 v[238:239], v[86:87], s[18:19] op_sel_hi:[1,0]
	v_pk_fma_f32 v[112:113], v[112:113], s[48:49], v[74:75] neg_lo:[1,0,0] neg_hi:[1,0,0]
	v_pk_fma_f32 v[240:241], v[84:85], s[36:37], v[238:239] op_sel:[0,0,1] op_sel_hi:[1,0,0] neg_lo:[0,0,1] neg_hi:[0,0,1]
	v_pk_fma_f32 v[238:239], v[84:85], s[36:37], v[238:239] op_sel:[0,0,1] op_sel_hi:[1,0,0]
	v_mov_b32_e32 v242, v240
	v_mov_b32_e32 v243, v239
	v_pk_add_f32 v[210:211], v[242:243], v[210:211]
	ds_write2_b64 v173, v[176:177], v[210:211] offset0:6 offset1:7
	v_pk_fma_f32 v[176:177], v[36:37], s[20:21], v[72:73] neg_lo:[1,0,0] neg_hi:[1,0,0]
	v_pk_fma_f32 v[210:211], v[36:37], s[20:21], v[72:73]
	v_pk_fma_f32 v[242:243], v[38:39], s[48:49], v[74:75]
	v_mov_b32_e32 v177, v211
	v_pk_add_f32 v[176:177], v[176:177], v[0:1]
	v_mov_b32_e32 v113, v243
	v_pk_add_f32 v[112:113], v[112:113], v[176:177]
	v_pk_fma_f32 v[176:177], v[66:67], s[42:43], v[70:71] op_sel:[0,0,1] op_sel_hi:[1,0,0] neg_lo:[0,0,1] neg_hi:[0,0,1]
	v_pk_fma_f32 v[66:67], v[66:67], s[42:43], v[70:71] op_sel:[0,0,1] op_sel_hi:[1,0,0]
	v_mov_b32_e32 v70, v176
	v_mov_b32_e32 v71, v67
	v_pk_add_f32 v[70:71], v[70:71], v[112:113]
	v_pk_fma_f32 v[112:113], v[56:57], s[34:35], v[64:65] op_sel:[0,0,1] op_sel_hi:[1,0,0] neg_lo:[0,0,1] neg_hi:[0,0,1]
	v_pk_fma_f32 v[56:57], v[56:57], s[34:35], v[64:65] op_sel:[0,0,1] op_sel_hi:[1,0,0]
	v_mov_b32_e32 v64, v112
	v_mov_b32_e32 v65, v57
	v_pk_mul_f32 v[54:55], v[54:55], s[16:17] op_sel_hi:[1,0]
	v_pk_add_f32 v[64:65], v[64:65], v[70:71]
	v_pk_fma_f32 v[70:71], v[52:53], s[40:41], v[54:55] op_sel:[0,0,1] op_sel_hi:[1,0,0] neg_lo:[0,0,1] neg_hi:[0,0,1]
	v_pk_fma_f32 v[52:53], v[52:53], s[40:41], v[54:55] op_sel:[0,0,1] op_sel_hi:[1,0,0]
	v_mov_b32_e32 v54, v70
	v_mov_b32_e32 v55, v53
	v_pk_add_f32 v[54:55], v[54:55], v[64:65]
	v_pk_mul_f32 v[64:65], v[78:79], s[44:45] op_sel_hi:[1,0]
	v_pk_fma_f32 v[72:73], v[36:37], s[20:21], v[72:73] neg_lo:[0,0,1] neg_hi:[0,0,1]
	v_pk_fma_f32 v[78:79], v[76:77], s[28:29], v[64:65] op_sel:[0,0,1] op_sel_hi:[1,0,0] neg_lo:[0,0,1] neg_hi:[0,0,1]
	v_pk_fma_f32 v[64:65], v[76:77], s[28:29], v[64:65] op_sel:[0,0,1] op_sel_hi:[1,0,0]
	v_mov_b32_e32 v211, v73
	v_pk_fma_f32 v[72:73], v[38:39], s[48:49], v[74:75] neg_lo:[0,0,1] neg_hi:[0,0,1]
	v_mov_b32_e32 v76, v78
	v_mov_b32_e32 v77, v65
	;; [unrolled: 1-line block ×3, first 2 shown]
	v_pk_add_f32 v[72:73], v[210:211], v[0:1]
	v_pk_add_f32 v[54:55], v[76:77], v[54:55]
	v_pk_mul_f32 v[76:77], v[82:83], s[18:19] op_sel_hi:[1,0]
	v_pk_add_f32 v[72:73], v[242:243], v[72:73]
	v_mov_b32_e32 v67, v177
	v_pk_fma_f32 v[82:83], v[80:81], s[36:37], v[76:77] op_sel:[0,0,1] op_sel_hi:[1,0,0] neg_lo:[0,0,1] neg_hi:[0,0,1]
	v_pk_fma_f32 v[76:77], v[80:81], s[36:37], v[76:77] op_sel:[0,0,1] op_sel_hi:[1,0,0]
	v_pk_add_f32 v[66:67], v[66:67], v[72:73]
	v_mov_b32_e32 v57, v113
	v_mov_b32_e32 v80, v82
	;; [unrolled: 1-line block ×3, first 2 shown]
	v_pk_add_f32 v[56:57], v[56:57], v[66:67]
	v_mov_b32_e32 v53, v71
	v_pk_add_f32 v[54:55], v[80:81], v[54:55]
	v_pk_mul_f32 v[80:81], v[86:87], s[54:55] op_sel_hi:[1,0]
	v_pk_add_f32 v[52:53], v[52:53], v[56:57]
	v_mov_b32_e32 v65, v79
	v_pk_fma_f32 v[86:87], v[84:85], s[26:27], v[80:81] op_sel:[0,0,1] op_sel_hi:[1,0,0] neg_lo:[0,0,1] neg_hi:[0,0,1]
	v_pk_fma_f32 v[80:81], v[84:85], s[26:27], v[80:81] op_sel:[0,0,1] op_sel_hi:[1,0,0]
	v_pk_add_f32 v[52:53], v[64:65], v[52:53]
	v_mov_b32_e32 v77, v83
	v_mov_b32_e32 v84, v86
	v_mov_b32_e32 v85, v81
	v_pk_add_f32 v[52:53], v[76:77], v[52:53]
	v_mov_b32_e32 v81, v87
	v_pk_add_f32 v[54:55], v[84:85], v[54:55]
	v_pk_add_f32 v[52:53], v[80:81], v[52:53]
	ds_write2_b64 v173, v[54:55], v[52:53] offset0:8 offset1:9
	v_pk_fma_f32 v[52:53], v[36:37], s[24:25], v[208:209] neg_lo:[0,0,1] neg_hi:[0,0,1]
	v_pk_fma_f32 v[54:55], v[36:37], s[16:17], v[174:175] neg_lo:[0,0,1] neg_hi:[0,0,1]
	v_mov_b32_e32 v213, v53
	v_pk_fma_f32 v[52:53], v[38:39], s[44:45], v[214:215] neg_lo:[0,0,1] neg_hi:[0,0,1]
	v_mov_b32_e32 v179, v55
	;; [unrolled: 2-line block ×3, first 2 shown]
	v_pk_add_f32 v[52:53], v[212:213], v[0:1]
	v_mov_b32_e32 v185, v55
	v_pk_add_f32 v[54:55], v[178:179], v[0:1]
	v_pk_add_f32 v[52:53], v[218:219], v[52:53]
	v_mov_b32_e32 v217, v221
	v_pk_add_f32 v[54:55], v[184:185], v[54:55]
	;; [unrolled: 3-line block ×7, first 2 shown]
	v_pk_add_f32 v[52:53], v[238:239], v[52:53]
	v_pk_add_f32 v[54:55], v[204:205], v[54:55]
	ds_write2_b64 v173, v[52:53], v[54:55] offset0:10 offset1:11
	v_pk_fma_f32 v[52:53], v[36:37], s[18:19], v[58:59] neg_lo:[0,0,1] neg_hi:[0,0,1]
	v_mov_b32_e32 v115, v49
	v_mov_b32_e32 v143, v53
	v_pk_fma_f32 v[52:53], v[38:39], s[22:23], v[68:69] neg_lo:[0,0,1] neg_hi:[0,0,1]
	v_mov_b32_e32 v5, v35
	v_mov_b32_e32 v145, v53
	v_pk_add_f32 v[52:53], v[142:143], v[0:1]
	v_pk_add_f32 v[48:49], v[114:115], v[0:1]
	v_pk_fma_f32 v[50:51], v[38:39], s[20:21], v[50:51] neg_lo:[0,0,1] neg_hi:[0,0,1]
	v_pk_add_f32 v[0:1], v[4:5], v[0:1]
	v_pk_fma_f32 v[4:5], v[38:39], s[6:7], v[44:45] neg_lo:[0,0,1] neg_hi:[0,0,1]
	v_mov_b32_e32 v117, v51
	v_mov_b32_e32 v7, v5
	v_pk_add_f32 v[52:53], v[144:145], v[52:53]
	v_mov_b32_e32 v149, v147
	v_pk_add_f32 v[48:49], v[116:117], v[48:49]
	v_mov_b32_e32 v121, v119
	v_mov_b32_e32 v91, v89
	v_pk_add_f32 v[0:1], v[6:7], v[0:1]
	v_mov_b32_e32 v11, v9
	v_pk_add_f32 v[52:53], v[148:149], v[52:53]
	;; [unrolled: 2-line block ×22, first 2 shown]
	v_pk_add_f32 v[48:49], v[140:141], v[48:49]
	v_pk_add_f32 v[32:33], v[110:111], v[32:33]
	;; [unrolled: 1-line block ×3, first 2 shown]
	ds_write2_b64 v173, v[52:53], v[48:49] offset0:12 offset1:13
	ds_write2_b64 v173, v[32:33], v[0:1] offset0:14 offset1:15
	ds_write_b64 v173, v[2:3] offset:128
.LBB0_7:
	s_or_b64 exec, exec, s[14:15]
	s_mov_b64 s[0:1], 0xee
	v_lshl_add_u64 v[0:1], v[60:61], 0, s[0:1]
	s_movk_i32 s0, 0xf1
	v_add_u16_e32 v4, 0xcc, v60
	v_mul_lo_u16_sdwa v5, v4, s0 dst_sel:DWORD dst_unused:UNUSED_PAD src0_sel:BYTE_0 src1_sel:DWORD
	s_mov_b32 s1, 0xf0f1
	v_lshrrev_b16_e32 v6, 12, v5
	v_mul_u32_u24_sdwa v5, v0, s1 dst_sel:DWORD dst_unused:UNUSED_PAD src0_sel:WORD_0 src1_sel:DWORD
	v_lshrrev_b32_e32 v8, 20, v5
	v_mul_lo_u16_e32 v5, 17, v8
	v_sub_u16_e32 v9, v0, v5
	v_lshlrev_b32_e32 v0, 3, v9
	s_load_dwordx4 s[4:7], s[4:5], 0x0
	s_waitcnt lgkmcnt(0)
	s_barrier
	global_load_dwordx2 v[78:79], v0, s[10:11]
	v_mul_lo_u16_e32 v0, 17, v6
	v_mov_b32_e32 v1, 3
	v_sub_u16_e32 v7, v4, v0
	v_lshlrev_b32_sdwa v0, v1, v7 dst_sel:DWORD dst_unused:UNUSED_PAD src0_sel:DWORD src1_sel:BYTE_0
	v_add_u16_e32 v4, 0xaa, v60
	global_load_dwordx2 v[76:77], v0, s[10:11]
	v_mul_lo_u16_sdwa v0, v4, s0 dst_sel:DWORD dst_unused:UNUSED_PAD src0_sel:BYTE_0 src1_sel:DWORD
	v_lshrrev_b16_e32 v10, 12, v0
	v_mul_lo_u16_e32 v0, 17, v10
	v_sub_u16_e32 v11, v4, v0
	v_add_u16_e32 v4, 0x88, v60
	v_mul_lo_u16_sdwa v5, v4, s0 dst_sel:DWORD dst_unused:UNUSED_PAD src0_sel:BYTE_0 src1_sel:DWORD
	v_lshrrev_b16_e32 v12, 12, v5
	v_add_u16_e32 v5, 0x66, v60
	v_mul_lo_u16_sdwa v14, v5, s0 dst_sel:DWORD dst_unused:UNUSED_PAD src0_sel:BYTE_0 src1_sel:DWORD
	v_lshrrev_b16_e32 v14, 12, v14
	v_mul_lo_u16_e32 v15, 17, v14
	v_sub_u16_e32 v15, v5, v15
	v_lshlrev_b32_sdwa v0, v1, v11 dst_sel:DWORD dst_unused:UNUSED_PAD src0_sel:DWORD src1_sel:BYTE_0
	v_lshlrev_b32_sdwa v5, v1, v15 dst_sel:DWORD dst_unused:UNUSED_PAD src0_sel:DWORD src1_sel:BYTE_0
	global_load_dwordx2 v[74:75], v0, s[10:11]
	global_load_dwordx2 v[70:71], v5, s[10:11]
	v_mul_lo_u16_e32 v0, 17, v12
	v_sub_u16_e32 v13, v4, v0
	v_lshlrev_b32_sdwa v0, v1, v13 dst_sel:DWORD dst_unused:UNUSED_PAD src0_sel:DWORD src1_sel:BYTE_0
	global_load_dwordx2 v[72:73], v0, s[10:11]
	v_add_u16_e32 v0, 0x44, v60
	v_mul_lo_u16_sdwa v4, v0, s0 dst_sel:DWORD dst_unused:UNUSED_PAD src0_sel:BYTE_0 src1_sel:DWORD
	v_lshrrev_b16_e32 v18, 12, v4
	v_mul_lo_u16_e32 v4, 17, v18
	v_sub_u16_e32 v19, v0, v4
	v_lshlrev_b32_sdwa v0, v1, v19 dst_sel:DWORD dst_unused:UNUSED_PAD src0_sel:DWORD src1_sel:BYTE_0
	v_add_u16_e32 v4, 34, v60
	global_load_dwordx2 v[68:69], v0, s[10:11]
	v_mul_lo_u16_sdwa v0, v4, s0 dst_sel:DWORD dst_unused:UNUSED_PAD src0_sel:BYTE_0 src1_sel:DWORD
	v_lshrrev_b16_e32 v20, 12, v0
	v_mul_lo_u16_e32 v0, 17, v20
	v_sub_u16_e32 v21, v4, v0
	s_movk_i32 s0, 0xffef
	v_lshlrev_b32_sdwa v0, v1, v21 dst_sel:DWORD dst_unused:UNUSED_PAD src0_sel:DWORD src1_sel:BYTE_0
	s_mov_b32 s1, -1
	global_load_dwordx2 v[66:67], v0, s[10:11]
	v_lshl_add_u64 v[0:1], v[60:61], 0, s[0:1]
	v_cmp_gt_u16_e64 s[0:1], 17, v60
	v_add_lshl_u32 v122, v172, v60, 3
	v_add_u32_e32 v61, 0x800, v122
	v_cndmask_b32_e64 v1, v1, 0, s[0:1]
	v_cndmask_b32_e64 v0, v0, v60, s[0:1]
	v_lshl_add_u64 v[4:5], v[0:1], 3, s[10:11]
	global_load_dwordx2 v[64:65], v[4:5], off
	v_cmp_lt_u16_e64 s[0:1], 16, v60
	v_mov_b64_e32 v[16:17], s[10:11]
	s_mov_b32 s10, 0x3f6c835e
	v_cndmask_b32_e64 v1, 0, 34, s[0:1]
	v_add_u32_e32 v0, v0, v1
	v_add_lshl_u32 v81, v172, v0, 3
	v_mad_legacy_u16 v0, v20, 34, v21
	v_and_b32_e32 v0, 0xff, v0
	v_add_lshl_u32 v123, v172, v0, 3
	v_mul_u32_u24_e32 v0, 34, v18
	v_add_u32_sdwa v0, v0, v19 dst_sel:DWORD dst_unused:UNUSED_PAD src0_sel:DWORD src1_sel:BYTE_0
	v_add_lshl_u32 v130, v172, v0, 3
	v_mul_u32_u24_e32 v0, 34, v14
	v_add_u32_sdwa v0, v0, v15 dst_sel:DWORD dst_unused:UNUSED_PAD src0_sel:DWORD src1_sel:BYTE_0
	;; [unrolled: 3-line block ×5, first 2 shown]
	ds_read2_b64 v[4:7], v61 offset0:220 offset1:254
	v_add_lshl_u32 v134, v172, v0, 3
	v_mad_legacy_u16 v0, v8, 34, v9
	ds_read2_b64 v[8:11], v122 offset0:204 offset1:238
	v_add_lshl_u32 v135, v172, v0, 3
	s_movk_i32 s0, 0x78
	s_waitcnt vmcnt(7) lgkmcnt(1)
	v_pk_mul_f32 v[0:1], v[6:7], v[78:79] op_sel:[0,1]
	s_mov_b32 s12, 0x3ec3ef15
	v_pk_fma_f32 v[12:13], v[6:7], v[78:79], v[0:1] op_sel:[0,0,1] op_sel_hi:[1,1,0] neg_lo:[0,0,1] neg_hi:[0,0,1]
	v_pk_fma_f32 v[0:1], v[6:7], v[78:79], v[0:1] op_sel:[0,0,1] op_sel_hi:[1,0,0]
	s_waitcnt vmcnt(6)
	v_pk_mul_f32 v[6:7], v[4:5], v[76:77] op_sel:[0,1]
	v_mov_b32_e32 v13, v1
	s_waitcnt lgkmcnt(0)
	v_pk_add_f32 v[0:1], v[10:11], v[12:13] neg_lo:[0,1] neg_hi:[0,1]
	v_pk_fma_f32 v[12:13], v[4:5], v[76:77], v[6:7] op_sel:[0,0,1] op_sel_hi:[1,1,0] neg_lo:[0,0,1] neg_hi:[0,0,1]
	v_pk_fma_f32 v[14:15], v[4:5], v[76:77], v[6:7] op_sel:[0,0,1] op_sel_hi:[1,0,0]
	ds_read2_b64 v[4:7], v61 offset0:152 offset1:186
	v_mov_b32_e32 v13, v15
	v_pk_add_f32 v[18:19], v[8:9], v[12:13] neg_lo:[0,1] neg_hi:[0,1]
	ds_read2_b64 v[12:15], v122 offset0:136 offset1:170
	v_pk_fma_f32 v[8:9], v[8:9], 2.0, v[18:19] op_sel_hi:[1,0,1] neg_lo:[0,0,1] neg_hi:[0,0,1]
	s_waitcnt vmcnt(5) lgkmcnt(1)
	v_pk_mul_f32 v[20:21], v[6:7], v[74:75] op_sel:[0,1]
	s_nop 0
	v_pk_fma_f32 v[22:23], v[6:7], v[74:75], v[20:21] op_sel:[0,0,1] op_sel_hi:[1,1,0] neg_lo:[0,0,1] neg_hi:[0,0,1]
	v_pk_fma_f32 v[6:7], v[6:7], v[74:75], v[20:21] op_sel:[0,0,1] op_sel_hi:[1,0,0]
	s_nop 0
	v_mov_b32_e32 v23, v7
	s_waitcnt lgkmcnt(0)
	v_pk_add_f32 v[20:21], v[14:15], v[22:23] neg_lo:[0,1] neg_hi:[0,1]
	s_waitcnt vmcnt(3)
	v_pk_mul_f32 v[6:7], v[4:5], v[72:73] op_sel:[0,1]
	v_pk_fma_f32 v[22:23], v[14:15], 2.0, v[20:21] op_sel_hi:[1,0,1] neg_lo:[0,0,1] neg_hi:[0,0,1]
	v_pk_fma_f32 v[14:15], v[4:5], v[72:73], v[6:7] op_sel:[0,0,1] op_sel_hi:[1,1,0] neg_lo:[0,0,1] neg_hi:[0,0,1]
	v_pk_fma_f32 v[24:25], v[4:5], v[72:73], v[6:7] op_sel:[0,0,1] op_sel_hi:[1,0,0]
	ds_read2_b64 v[4:7], v61 offset0:84 offset1:118
	v_mov_b32_e32 v15, v25
	v_pk_add_f32 v[24:25], v[12:13], v[14:15] neg_lo:[0,1] neg_hi:[0,1]
	s_waitcnt lgkmcnt(0)
	v_pk_mul_f32 v[28:29], v[6:7], v[70:71] op_sel:[0,1]
	v_pk_fma_f32 v[26:27], v[12:13], 2.0, v[24:25] op_sel_hi:[1,0,1] neg_lo:[0,0,1] neg_hi:[0,0,1]
	ds_read2_b64 v[12:15], v122 offset0:68 offset1:102
	v_pk_fma_f32 v[30:31], v[6:7], v[70:71], v[28:29] op_sel:[0,0,1] op_sel_hi:[1,1,0] neg_lo:[0,0,1] neg_hi:[0,0,1]
	v_pk_fma_f32 v[6:7], v[6:7], v[70:71], v[28:29] op_sel:[0,0,1] op_sel_hi:[1,0,0]
	s_nop 0
	v_mov_b32_e32 v31, v7
	s_waitcnt lgkmcnt(0)
	v_pk_add_f32 v[28:29], v[14:15], v[30:31] neg_lo:[0,1] neg_hi:[0,1]
	s_waitcnt vmcnt(2)
	v_pk_mul_f32 v[6:7], v[4:5], v[68:69] op_sel:[0,1]
	v_pk_fma_f32 v[30:31], v[14:15], 2.0, v[28:29] op_sel_hi:[1,0,1] neg_lo:[0,0,1] neg_hi:[0,0,1]
	v_pk_fma_f32 v[14:15], v[4:5], v[68:69], v[6:7] op_sel:[0,0,1] op_sel_hi:[1,1,0] neg_lo:[0,0,1] neg_hi:[0,0,1]
	v_pk_fma_f32 v[32:33], v[4:5], v[68:69], v[6:7] op_sel:[0,0,1] op_sel_hi:[1,0,0]
	ds_read2_b64 v[4:7], v61 offset0:16 offset1:50
	v_mov_b32_e32 v15, v33
	v_pk_add_f32 v[32:33], v[12:13], v[14:15] neg_lo:[0,1] neg_hi:[0,1]
	s_waitcnt vmcnt(1) lgkmcnt(0)
	v_pk_mul_f32 v[36:37], v[6:7], v[66:67] op_sel:[0,1]
	v_pk_fma_f32 v[34:35], v[12:13], 2.0, v[32:33] op_sel_hi:[1,0,1] neg_lo:[0,0,1] neg_hi:[0,0,1]
	ds_read2_b64 v[12:15], v122 offset1:34
	v_pk_fma_f32 v[38:39], v[6:7], v[66:67], v[36:37] op_sel:[0,0,1] op_sel_hi:[1,1,0] neg_lo:[0,0,1] neg_hi:[0,0,1]
	v_pk_fma_f32 v[6:7], v[6:7], v[66:67], v[36:37] op_sel:[0,0,1] op_sel_hi:[1,0,0]
	s_waitcnt vmcnt(0)
	v_pk_mul_f32 v[36:37], v[4:5], v[64:65] op_sel:[0,1]
	v_mov_b32_e32 v39, v7
	s_waitcnt lgkmcnt(0)
	v_pk_add_f32 v[6:7], v[14:15], v[38:39] neg_lo:[0,1] neg_hi:[0,1]
	v_pk_fma_f32 v[38:39], v[4:5], v[64:65], v[36:37] op_sel:[0,0,1] op_sel_hi:[1,1,0] neg_lo:[0,0,1] neg_hi:[0,0,1]
	v_pk_fma_f32 v[4:5], v[4:5], v[64:65], v[36:37] op_sel:[0,0,1] op_sel_hi:[1,0,0]
	v_pk_fma_f32 v[14:15], v[14:15], 2.0, v[6:7] op_sel_hi:[1,0,1] neg_lo:[0,0,1] neg_hi:[0,0,1]
	v_mov_b32_e32 v39, v5
	v_pk_add_f32 v[4:5], v[12:13], v[38:39] neg_lo:[0,1] neg_hi:[0,1]
	s_nop 0
	v_pk_fma_f32 v[12:13], v[12:13], 2.0, v[4:5] op_sel_hi:[1,0,1] neg_lo:[0,0,1] neg_hi:[0,0,1]
	s_barrier
	ds_write2_b64 v81, v[12:13], v[4:5] offset1:17
	ds_write2_b64 v123, v[14:15], v[6:7] offset1:17
	;; [unrolled: 1-line block ×7, first 2 shown]
	v_pk_fma_f32 v[4:5], v[10:11], 2.0, v[0:1] op_sel_hi:[1,0,1] neg_lo:[0,0,1] neg_hi:[0,0,1]
	ds_write2_b64 v135, v[4:5], v[0:1] offset1:17
	v_mad_u64_u32 v[0:1], s[0:1], v60, s0, v[16:17]
	s_waitcnt lgkmcnt(0)
	s_barrier
	global_load_dwordx4 v[12:15], v[0:1], off offset:152
	global_load_dwordx4 v[16:19], v[0:1], off offset:136
	;; [unrolled: 1-line block ×7, first 2 shown]
	global_load_dwordx2 v[226:227], v[0:1], off offset:248
	ds_read2_b64 v[32:35], v122 offset1:34
	ds_read2_b64 v[36:39], v122 offset0:68 offset1:102
	ds_read2_b64 v[40:43], v122 offset0:136 offset1:170
	;; [unrolled: 1-line block ×7, first 2 shown]
	s_waitcnt lgkmcnt(7)
	v_mov_b32_e32 v90, v35
	s_waitcnt lgkmcnt(5)
	v_mov_b32_e32 v91, v43
	v_mov_b32_e32 v98, v37
	s_waitcnt lgkmcnt(4)
	v_mov_b32_e32 v99, v45
	s_waitcnt lgkmcnt(3)
	;; [unrolled: 2-line block ×3, first 2 shown]
	v_mov_b32_e32 v111, v59
	v_mov_b32_e32 v118, v53
	s_waitcnt lgkmcnt(0)
	v_mov_b32_e32 v119, v83
	s_mov_b32 s0, 0x3f3504f3
	v_lshl_add_u32 v61, v60, 3, v244
	s_waitcnt vmcnt(7)
	v_pk_mul_f32 v[0:1], v[38:39], v[12:13]
	s_nop 0
	v_mov_b32_e32 v1, v0
	v_pk_fma_f32 v[0:1], v[38:39], v[12:13], v[0:1] neg_lo:[1,0,0] neg_hi:[1,0,0]
	v_mov_b32_e32 v86, v13
	s_waitcnt vmcnt(6)
	v_mov_b32_e32 v92, v17
	s_waitcnt vmcnt(5)
	v_mov_b32_e32 v93, v9
	v_mov_b32_e32 v0, v39
	v_pk_mul_f32 v[38:39], v[38:39], v[86:87]
	v_mov_b32_e32 v86, v34
	v_pk_mul_f32 v[90:91], v[90:91], v[92:93]
	v_mov_b32_e32 v92, v43
	v_mov_b32_e32 v93, v35
	;; [unrolled: 1-line block ×7, first 2 shown]
	v_pk_fma_f32 v[38:39], v[0:1], v[12:13], v[38:39]
	v_mov_b32_e32 v87, v42
	v_pk_mul_f32 v[34:35], v[42:43], v[34:35]
	v_mov_b32_e32 v42, v36
	v_pk_mul_f32 v[98:99], v[98:99], v[100:101]
	v_mov_b32_e32 v100, v45
	v_mov_b32_e32 v101, v37
	;; [unrolled: 1-line block ×5, first 2 shown]
	s_waitcnt vmcnt(4)
	v_mov_b32_e32 v0, v5
	v_pk_mul_f32 v[104:105], v[46:47], v[4:5] op_sel:[1,0] op_sel_hi:[0,1]
	v_mov_b32_e32 v43, v44
	v_pk_mul_f32 v[36:37], v[44:45], v[36:37]
	v_pk_mul_f32 v[44:45], v[46:47], v[0:1] op_sel:[1,0] op_sel_hi:[0,1]
	v_mov_b32_e32 v0, v105
	s_waitcnt vmcnt(3)
	v_pk_mul_f32 v[106:107], v[54:55], v[24:25] op_sel:[1,0] op_sel_hi:[0,1]
	s_waitcnt vmcnt(2)
	v_mov_b32_e32 v112, v29
	s_waitcnt vmcnt(1)
	v_mov_b32_e32 v113, v21
	v_pk_fma_f32 v[44:45], v[46:47], v[4:5], v[44:45] neg_lo:[0,0,1] neg_hi:[0,0,1]
	v_pk_fma_f32 v[46:47], v[46:47], v[4:5], v[0:1] op_sel:[1,0,0] op_sel_hi:[0,1,1]
	v_mov_b32_e32 v0, v25
	v_mov_b32_e32 v39, v106
	;; [unrolled: 1-line block ×3, first 2 shown]
	v_pk_mul_f32 v[110:111], v[110:111], v[112:113]
	v_mov_b32_e32 v112, v59
	v_mov_b32_e32 v113, v51
	v_mov_b32_e32 v59, v50
	v_mov_b32_e32 v50, v21
	v_mov_b32_e32 v51, v29
	v_mov_b32_e32 v120, v31
	v_mov_b32_e32 v121, v23
	v_pk_mul_f32 v[104:105], v[54:55], v[0:1] op_sel:[1,0] op_sel_hi:[0,1]
	v_mov_b32_e32 v107, v58
	v_pk_mul_f32 v[50:51], v[58:59], v[50:51]
	v_mov_b32_e32 v58, v52
	v_pk_mul_f32 v[118:119], v[118:119], v[120:121]
	v_mov_b32_e32 v120, v83
	v_mov_b32_e32 v121, v53
	v_mov_b32_e32 v83, v52
	v_mov_b32_e32 v52, v23
	v_mov_b32_e32 v53, v31
	s_waitcnt vmcnt(0)
	v_mov_b32_e32 v0, v227
	v_pk_mul_f32 v[126:127], v[84:85], v[226:227] op_sel:[1,0] op_sel_hi:[0,1]
	v_mov_b32_e32 v59, v82
	v_pk_mul_f32 v[52:53], v[82:83], v[52:53]
	v_pk_mul_f32 v[82:83], v[84:85], v[0:1] op_sel:[1,0] op_sel_hi:[0,1]
	v_mov_b32_e32 v0, v127
	v_pk_fma_f32 v[82:83], v[84:85], v[226:227], v[82:83] neg_lo:[0,0,1] neg_hi:[0,0,1]
	v_pk_fma_f32 v[84:85], v[84:85], v[226:227], v[0:1] op_sel:[1,0,0] op_sel_hi:[0,1,1]
	v_mov_b32_e32 v0, v15
	v_pk_mul_f32 v[126:127], v[40:41], v[0:1] op_sel_hi:[1,0]
	v_mov_b32_e32 v88, v16
	v_mov_b32_e32 v89, v8
	v_pk_fma_f32 v[128:129], v[40:41], v[14:15], v[126:127] op_sel:[1,0,0] op_sel_hi:[0,1,1]
	v_pk_fma_f32 v[40:41], v[40:41], v[14:15], v[126:127] op_sel:[1,0,0] op_sel_hi:[0,0,1] neg_lo:[0,0,1] neg_hi:[0,0,1]
	v_mov_b32_e32 v0, v7
	v_mov_b32_e32 v129, v41
	v_pk_fma_f32 v[40:41], v[86:87], v[88:89], v[90:91] neg_lo:[0,0,1] neg_hi:[0,0,1]
	v_pk_mul_f32 v[86:87], v[48:49], v[0:1] op_sel_hi:[1,0]
	v_mov_b32_e32 v0, v27
	v_pk_fma_f32 v[88:89], v[48:49], v[6:7], v[86:87] op_sel:[0,0,1] op_sel_hi:[1,1,0] neg_lo:[0,0,1] neg_hi:[0,0,1]
	v_pk_fma_f32 v[48:49], v[48:49], v[6:7], v[86:87] op_sel:[0,0,1] op_sel_hi:[1,0,0]
	v_mov_b32_e32 v96, v18
	v_mov_b32_e32 v97, v10
	;; [unrolled: 1-line block ×9, first 2 shown]
	v_pk_mul_f32 v[48:49], v[56:57], v[0:1] op_sel_hi:[1,0]
	v_mov_b32_e32 v94, v8
	v_mov_b32_e32 v95, v16
	;; [unrolled: 1-line block ×6, first 2 shown]
	v_pk_fma_f32 v[42:43], v[42:43], v[96:97], v[98:99] neg_lo:[0,0,1] neg_hi:[0,0,1]
	v_pk_fma_f32 v[36:37], v[100:101], v[102:103], v[36:37]
	v_pk_fma_f32 v[86:87], v[56:57], v[26:27], v[48:49] op_sel:[1,0,0] op_sel_hi:[0,1,1]
	v_pk_fma_f32 v[48:49], v[56:57], v[26:27], v[48:49] op_sel:[1,0,0] op_sel_hi:[0,0,1] neg_lo:[0,0,1] neg_hi:[0,0,1]
	v_pk_fma_f32 v[56:57], v[58:59], v[116:117], v[118:119] neg_lo:[0,0,1] neg_hi:[0,0,1]
	v_pk_fma_f32 v[52:53], v[120:121], v[124:125], v[52:53]
	v_pk_fma_f32 v[34:35], v[92:93], v[94:95], v[34:35]
	v_mov_b32_e32 v87, v49
	v_pk_fma_f32 v[48:49], v[106:107], v[108:109], v[110:111] neg_lo:[0,0,1] neg_hi:[0,0,1]
	v_pk_fma_f32 v[50:51], v[112:113], v[114:115], v[50:51]
	v_pk_add_f32 v[56:57], v[42:43], v[56:57] neg_lo:[0,1] neg_hi:[0,1]
	v_pk_add_f32 v[52:53], v[36:37], v[52:53] neg_lo:[0,1] neg_hi:[0,1]
	v_pk_fma_f32 v[104:105], v[54:55], v[24:25], v[104:105] neg_lo:[0,0,1] neg_hi:[0,0,1]
	v_pk_fma_f32 v[54:55], v[54:55], v[24:25], v[38:39] op_sel:[1,0,0] op_sel_hi:[0,1,1]
	v_mov_b32_e32 v90, v37
	v_mov_b32_e32 v91, v42
	;; [unrolled: 1-line block ×5, first 2 shown]
	v_pk_add_f32 v[48:49], v[40:41], v[48:49] neg_lo:[0,1] neg_hi:[0,1]
	v_pk_add_f32 v[50:51], v[34:35], v[50:51] neg_lo:[0,1] neg_hi:[0,1]
	v_pk_fma_f32 v[36:37], v[36:37], 2.0, v[42:43] op_sel_hi:[1,0,1] neg_lo:[0,0,1] neg_hi:[0,0,1]
	v_mov_b32_e32 v42, v40
	v_mov_b32_e32 v43, v35
	;; [unrolled: 1-line block ×12, first 2 shown]
	v_pk_fma_f32 v[34:35], v[40:41], 2.0, v[34:35] op_sel_hi:[1,0,1] neg_lo:[0,0,1] neg_hi:[0,0,1]
	v_pk_add_f32 v[0:1], v[0:1], v[104:105] neg_lo:[0,1] neg_hi:[0,1]
	v_pk_add_f32 v[40:41], v[46:47], v[84:85] neg_lo:[0,1] neg_hi:[0,1]
	;; [unrolled: 1-line block ×4, first 2 shown]
	v_mov_b32_e32 v54, v41
	v_mov_b32_e32 v55, v0
	v_pk_fma_f32 v[88:89], v[128:129], 2.0, v[86:87] op_sel_hi:[1,0,1] neg_lo:[0,0,1] neg_hi:[0,0,1]
	v_pk_fma_f32 v[38:39], v[38:39], 2.0, v[54:55] op_sel_hi:[1,0,1] neg_lo:[0,0,1] neg_hi:[0,0,1]
	v_pk_add_f32 v[54:55], v[58:59], v[86:87] neg_lo:[0,1] neg_hi:[0,1]
	v_pk_add_f32 v[82:83], v[58:59], v[86:87]
	v_pk_add_f32 v[84:85], v[56:57], v[52:53] neg_lo:[0,1] neg_hi:[0,1]
	v_pk_add_f32 v[86:87], v[56:57], v[52:53]
	v_mov_b32_e32 v92, v53
	v_mov_b32_e32 v93, v56
	;; [unrolled: 1-line block ×5, first 2 shown]
	v_pk_fma_f32 v[32:33], v[32:33], 2.0, v[58:59] op_sel_hi:[1,0,1] neg_lo:[0,0,1] neg_hi:[0,0,1]
	v_pk_fma_f32 v[90:91], v[90:91], 2.0, v[92:93] op_sel_hi:[1,0,1] neg_lo:[0,0,1] neg_hi:[0,0,1]
	v_mov_b32_e32 v47, v44
	v_mov_b32_e32 v44, v40
	;; [unrolled: 1-line block ×3, first 2 shown]
	v_pk_fma_f32 v[58:59], v[58:59], 2.0, v[54:55] op_sel_hi:[1,0,1] neg_lo:[0,0,1] neg_hi:[0,0,1]
	v_pk_fma_f32 v[52:53], v[56:57], 2.0, v[84:85] op_sel_hi:[1,0,1] neg_lo:[0,0,1] neg_hi:[0,0,1]
	v_pk_add_f32 v[86:87], v[0:1], v[40:41]
	v_mov_b32_e32 v92, v48
	v_mov_b32_e32 v93, v51
	v_pk_fma_f32 v[44:45], v[46:47], 2.0, v[44:45] op_sel_hi:[1,0,1] neg_lo:[0,0,1] neg_hi:[0,0,1]
	v_pk_add_f32 v[46:47], v[32:33], v[88:89] op_sel:[0,1] op_sel_hi:[1,0] neg_lo:[0,1] neg_hi:[0,1]
	v_pk_add_f32 v[36:37], v[90:91], v[36:37] neg_lo:[0,1] neg_hi:[0,1]
	v_pk_add_f32 v[56:57], v[48:49], v[50:51] neg_lo:[0,1] neg_hi:[0,1]
	v_pk_add_f32 v[48:49], v[48:49], v[50:51]
	v_pk_add_f32 v[50:51], v[0:1], v[40:41] neg_lo:[0,1] neg_hi:[0,1]
	v_fma_f32 v1, v41, 2.0, -v87
	v_pk_mul_f32 v[40:41], v[52:53], s[0:1] op_sel_hi:[1,0]
	v_pk_fma_f32 v[52:53], v[52:53], s[0:1], v[58:59] op_sel_hi:[1,0,1] neg_lo:[1,0,0] neg_hi:[1,0,0]
	v_pk_fma_f32 v[82:83], v[90:91], 2.0, v[36:37] op_sel_hi:[1,0,1] neg_lo:[0,0,1] neg_hi:[0,0,1]
	v_mov_b32_e32 v51, v87
	v_pk_add_f32 v[86:87], v[52:53], v[40:41] op_sel:[0,1] op_sel_hi:[1,0] neg_lo:[0,1] neg_hi:[0,1]
	v_pk_add_f32 v[40:41], v[52:53], v[40:41] op_sel:[0,1] op_sel_hi:[1,0]
	v_pk_add_f32 v[88:89], v[46:47], v[36:37] neg_lo:[0,1] neg_hi:[0,1]
	v_pk_add_f32 v[36:37], v[46:47], v[36:37]
	v_pk_fma_f32 v[42:43], v[42:43], 2.0, v[92:93] op_sel_hi:[1,0,1] neg_lo:[0,0,1] neg_hi:[0,0,1]
	v_mov_b32_e32 v87, v41
	v_mov_b32_e32 v89, v37
	v_pk_mul_f32 v[36:37], v[84:85], s[0:1] op_sel_hi:[1,0]
	v_pk_fma_f32 v[40:41], v[84:85], s[0:1], v[54:55] op_sel_hi:[1,0,1]
	v_pk_add_f32 v[34:35], v[42:43], v[34:35] neg_lo:[0,1] neg_hi:[0,1]
	v_mov_b32_e32 v57, v49
	v_pk_add_f32 v[44:45], v[38:39], v[44:45] neg_lo:[0,1] neg_hi:[0,1]
	v_pk_add_f32 v[84:85], v[40:41], v[36:37] op_sel:[0,1] op_sel_hi:[1,0] neg_lo:[0,1] neg_hi:[0,1]
	v_pk_add_f32 v[36:37], v[40:41], v[36:37] op_sel:[0,1] op_sel_hi:[1,0]
	v_pk_fma_f32 v[42:43], v[42:43], 2.0, v[34:35] op_sel_hi:[1,0,1] neg_lo:[0,0,1] neg_hi:[0,0,1]
	v_pk_fma_f32 v[48:49], v[92:93], 2.0, v[56:57] op_sel_hi:[1,0,1] neg_lo:[0,0,1] neg_hi:[0,0,1]
	;; [unrolled: 1-line block ×3, first 2 shown]
	v_fma_f32 v0, v0, 2.0, -v50
	v_mov_b32_e32 v85, v37
	v_pk_fma_f32 v[52:53], v[54:55], 2.0, v[84:85] op_sel_hi:[1,0,1] neg_lo:[0,0,1] neg_hi:[0,0,1]
	v_pk_add_f32 v[54:55], v[42:43], v[38:39] op_sel:[1,0] op_sel_hi:[0,1] neg_lo:[0,1] neg_hi:[0,1]
	v_pk_mul_f32 v[38:39], v[0:1], s[0:1] op_sel_hi:[1,0]
	v_pk_fma_f32 v[0:1], v[0:1], s[0:1], v[48:49] op_sel_hi:[1,0,1] neg_lo:[1,0,0] neg_hi:[1,0,0]
	v_fma_f32 v36, v42, 2.0, -v55
	v_fma_f32 v37, v43, 2.0, -v54
	v_pk_add_f32 v[42:43], v[0:1], v[38:39] op_sel:[0,1] op_sel_hi:[1,0] neg_lo:[0,1] neg_hi:[0,1]
	v_pk_add_f32 v[0:1], v[0:1], v[38:39] op_sel:[0,1] op_sel_hi:[1,0]
	v_pk_fma_f32 v[32:33], v[32:33], 2.0, v[46:47] op_sel_hi:[1,0,1] neg_lo:[0,0,1] neg_hi:[0,0,1]
	v_mov_b32_e32 v43, v1
	v_pk_add_f32 v[0:1], v[34:35], v[44:45] neg_lo:[0,1] neg_hi:[0,1]
	v_pk_add_f32 v[38:39], v[34:35], v[44:45]
	v_pk_add_f32 v[82:83], v[32:33], v[82:83] op_sel:[0,1] op_sel_hi:[1,0] neg_lo:[0,1] neg_hi:[0,1]
	v_mov_b32_e32 v1, v39
	v_fma_f32 v38, v34, 2.0, -v0
	v_fma_f32 v39, v35, 2.0, -v39
	v_pk_mul_f32 v[34:35], v[50:51], s[0:1] op_sel_hi:[1,0]
	v_pk_fma_f32 v[40:41], v[50:51], s[0:1], v[56:57] op_sel_hi:[1,0,1]
	v_fma_f32 v32, v32, 2.0, -v82
	v_fma_f32 v33, v33, 2.0, -v83
	v_pk_add_f32 v[92:93], v[40:41], v[34:35] op_sel:[0,1] op_sel_hi:[1,0] neg_lo:[0,1] neg_hi:[0,1]
	v_pk_add_f32 v[34:35], v[40:41], v[34:35] op_sel:[0,1] op_sel_hi:[1,0]
	v_pk_fma_f32 v[90:91], v[46:47], 2.0, v[88:89] op_sel_hi:[1,0,1] neg_lo:[0,0,1] neg_hi:[0,0,1]
	v_mov_b32_e32 v93, v35
	v_pk_add_f32 v[34:35], v[32:33], v[36:37] neg_lo:[0,1] neg_hi:[0,1]
	v_pk_fma_f32 v[36:37], v[48:49], 2.0, v[42:43] op_sel_hi:[1,0,1] neg_lo:[0,0,1] neg_hi:[0,0,1]
	v_pk_fma_f32 v[46:47], v[58:59], 2.0, v[86:87] op_sel_hi:[1,0,1] neg_lo:[0,0,1] neg_hi:[0,0,1]
	v_pk_mul_f32 v[40:41], v[36:37], s[12:13] op_sel_hi:[1,0]
	v_pk_fma_f32 v[48:49], v[36:37], s[10:11], v[46:47] op_sel_hi:[1,0,1] neg_lo:[1,0,0] neg_hi:[1,0,0]
	v_pk_fma_f32 v[44:45], v[56:57], 2.0, v[92:93] op_sel_hi:[1,0,1] neg_lo:[0,0,1] neg_hi:[0,0,1]
	v_pk_add_f32 v[36:37], v[48:49], v[40:41] op_sel:[0,1] op_sel_hi:[1,0] neg_lo:[0,1] neg_hi:[0,1]
	v_pk_add_f32 v[40:41], v[48:49], v[40:41] op_sel:[0,1] op_sel_hi:[1,0]
	v_pk_fma_f32 v[48:49], v[38:39], s[0:1], v[90:91] op_sel_hi:[1,0,1] neg_lo:[1,0,0] neg_hi:[1,0,0]
	v_mov_b32_e32 v37, v41
	v_pk_fma_f32 v[40:41], v[46:47], 2.0, v[36:37] op_sel_hi:[1,0,1] neg_lo:[0,0,1] neg_hi:[0,0,1]
	v_pk_mul_f32 v[46:47], v[38:39], s[0:1] op_sel_hi:[1,0]
	v_pk_fma_f32 v[98:99], v[32:33], 2.0, v[34:35] op_sel_hi:[1,0,1] neg_lo:[0,0,1] neg_hi:[0,0,1]
	v_pk_add_f32 v[38:39], v[48:49], v[46:47] op_sel:[0,1] op_sel_hi:[1,0] neg_lo:[0,1] neg_hi:[0,1]
	v_pk_add_f32 v[46:47], v[48:49], v[46:47] op_sel:[0,1] op_sel_hi:[1,0]
	v_pk_mul_f32 v[48:49], v[44:45], s[10:11] op_sel_hi:[1,0]
	v_mov_b32_e32 v39, v47
	v_pk_fma_f32 v[46:47], v[44:45], s[12:13], v[52:53] op_sel_hi:[1,0,1] neg_lo:[1,0,0] neg_hi:[1,0,0]
	v_pk_fma_f32 v[32:33], v[92:93], s[10:11], v[84:85] op_sel_hi:[1,0,1]
	v_pk_add_f32 v[44:45], v[46:47], v[48:49] op_sel:[0,1] op_sel_hi:[1,0] neg_lo:[0,1] neg_hi:[0,1]
	v_pk_add_f32 v[46:47], v[46:47], v[48:49] op_sel:[0,1] op_sel_hi:[1,0]
	v_pk_add_f32 v[48:49], v[82:83], v[54:55]
	v_mov_b32_e32 v45, v47
	v_pk_add_f32 v[46:47], v[82:83], v[54:55] neg_lo:[0,1] neg_hi:[0,1]
	v_mov_b32_e32 v138, v17
	v_mov_b32_e32 v47, v49
	v_pk_fma_f32 v[48:49], v[42:43], s[12:13], v[86:87] op_sel_hi:[1,0,1]
	v_pk_mul_f32 v[42:43], v[42:43], s[10:11] op_sel_hi:[1,0]
	v_mov_b32_e32 v136, v9
	v_pk_add_f32 v[56:57], v[48:49], v[42:43] op_sel:[0,1] op_sel_hi:[1,0] neg_lo:[0,1] neg_hi:[0,1]
	v_pk_add_f32 v[42:43], v[48:49], v[42:43] op_sel:[0,1] op_sel_hi:[1,0]
	v_mov_b32_e32 v144, v19
	v_mov_b32_e32 v57, v43
	v_pk_mul_f32 v[42:43], v[0:1], s[0:1] op_sel_hi:[1,0]
	v_pk_fma_f32 v[0:1], v[0:1], s[0:1], v[88:89] op_sel_hi:[1,0,1]
	v_mov_b32_e32 v140, v11
	v_pk_add_f32 v[58:59], v[0:1], v[42:43] op_sel:[0,1] op_sel_hi:[1,0] neg_lo:[0,1] neg_hi:[0,1]
	v_pk_add_f32 v[0:1], v[0:1], v[42:43] op_sel:[0,1] op_sel_hi:[1,0]
	v_pk_mul_f32 v[42:43], v[92:93], s[12:13] op_sel_hi:[1,0]
	v_mov_b32_e32 v59, v1
	v_pk_add_f32 v[0:1], v[32:33], v[42:43] op_sel:[0,1] op_sel_hi:[1,0] neg_lo:[0,1] neg_hi:[0,1]
	v_pk_add_f32 v[32:33], v[32:33], v[42:43] op_sel:[0,1] op_sel_hi:[1,0]
	v_mov_b32_e32 v146, v29
	v_mov_b32_e32 v1, v33
	;; [unrolled: 1-line block ×5, first 2 shown]
	v_pk_fma_f32 v[48:49], v[52:53], 2.0, v[44:45] op_sel_hi:[1,0,1] neg_lo:[0,0,1] neg_hi:[0,0,1]
	v_pk_fma_f32 v[50:51], v[82:83], 2.0, v[46:47] op_sel_hi:[1,0,1] neg_lo:[0,0,1] neg_hi:[0,0,1]
	;; [unrolled: 1-line block ×4, first 2 shown]
	v_lshl_add_u32 v92, v60, 3, v244
	v_pk_fma_f32 v[42:43], v[90:91], 2.0, v[38:39] op_sel_hi:[1,0,1] neg_lo:[0,0,1] neg_hi:[0,0,1]
	v_pk_fma_f32 v[32:33], v[84:85], 2.0, v[0:1] op_sel_hi:[1,0,1] neg_lo:[0,0,1] neg_hi:[0,0,1]
	v_add_u32_e32 v83, 0x400, v61
	v_add_u32_e32 v82, 0x800, v61
	ds_write_b64 v92, v[98:99]
	ds_write2_b64 v61, v[40:41], v[42:43] offset0:34 offset1:68
	ds_write2_b64 v61, v[48:49], v[50:51] offset0:102 offset1:136
	ds_write2_b64 v61, v[52:53], v[54:55] offset0:170 offset1:204
	ds_write2_b64 v83, v[32:33], v[34:35] offset0:110 offset1:144
	ds_write2_b64 v82, v[36:37], v[38:39] offset0:50 offset1:84
	ds_write2_b64 v82, v[44:45], v[46:47] offset0:118 offset1:152
	ds_write2_b64 v82, v[56:57], v[58:59] offset0:186 offset1:220
	ds_write_b64 v61, v[0:1] offset:4080
	s_waitcnt lgkmcnt(0)
	s_barrier
	s_and_saveexec_b64 s[0:1], vcc
	s_cbranch_execz .LBB0_9
; %bb.8:
	s_add_u32 s10, s2, 0x1100
	s_addc_u32 s11, s3, 0
	global_load_dwordx2 v[86:87], v170, s[10:11]
	ds_read_b64 v[84:85], v247
	s_waitcnt vmcnt(0) lgkmcnt(0)
	v_mul_f32_e32 v63, v85, v87
	v_mul_f32_e32 v89, v84, v87
	v_fma_f32 v88, v84, v86, -v63
	v_fmac_f32_e32 v89, v85, v86
	ds_write_b64 v247, v[88:89]
	global_load_dwordx2 v[88:89], v170, s[10:11] offset:256
	ds_read2_b64 v[84:87], v61 offset0:32 offset1:64
	s_waitcnt vmcnt(0) lgkmcnt(0)
	v_mul_f32_e32 v63, v85, v89
	v_mul_f32_e32 v91, v84, v89
	v_fma_f32 v90, v84, v88, -v63
	v_fmac_f32_e32 v91, v85, v88
	global_load_dwordx2 v[84:85], v170, s[10:11] offset:512
	s_waitcnt vmcnt(0)
	v_mul_f32_e32 v63, v87, v85
	v_mul_f32_e32 v89, v86, v85
	v_fma_f32 v88, v86, v84, -v63
	v_fmac_f32_e32 v89, v87, v84
	ds_write2_b64 v61, v[90:91], v[88:89] offset0:32 offset1:64
	global_load_dwordx2 v[88:89], v170, s[10:11] offset:768
	ds_read2_b64 v[84:87], v61 offset0:96 offset1:128
	s_waitcnt vmcnt(0) lgkmcnt(0)
	v_mul_f32_e32 v63, v85, v89
	v_mul_f32_e32 v91, v84, v89
	v_fma_f32 v90, v84, v88, -v63
	v_fmac_f32_e32 v91, v85, v88
	global_load_dwordx2 v[84:85], v170, s[10:11] offset:1024
	s_waitcnt vmcnt(0)
	v_mul_f32_e32 v63, v87, v85
	v_mul_f32_e32 v89, v86, v85
	v_fma_f32 v88, v86, v84, -v63
	v_fmac_f32_e32 v89, v87, v84
	ds_write2_b64 v61, v[90:91], v[88:89] offset0:96 offset1:128
	;; [unrolled: 14-line block ×6, first 2 shown]
	global_load_dwordx2 v[88:89], v170, s[10:11] offset:3328
	ds_read2_b64 v[84:87], v82 offset0:160 offset1:192
	s_waitcnt vmcnt(0) lgkmcnt(0)
	v_mul_f32_e32 v63, v85, v89
	v_mul_f32_e32 v91, v84, v89
	v_fma_f32 v90, v84, v88, -v63
	v_fmac_f32_e32 v91, v85, v88
	global_load_dwordx2 v[84:85], v170, s[10:11] offset:3584
	s_waitcnt vmcnt(0)
	v_mul_f32_e32 v63, v87, v85
	v_mul_f32_e32 v89, v86, v85
	v_fma_f32 v88, v86, v84, -v63
	v_fmac_f32_e32 v89, v87, v84
	global_load_dwordx2 v[86:87], v170, s[10:11] offset:3840
	v_add_u32_e32 v63, 0xc00, v61
	ds_write2_b64 v82, v[90:91], v[88:89] offset0:160 offset1:192
	ds_read2_b64 v[82:85], v63 offset0:96 offset1:128
	s_waitcnt vmcnt(0) lgkmcnt(0)
	v_mul_f32_e32 v80, v83, v87
	v_fma_f32 v88, v82, v86, -v80
	v_mul_f32_e32 v89, v82, v87
	v_or_b32_e32 v80, 0x1000, v170
	v_fmac_f32_e32 v89, v83, v86
	global_load_dwordx2 v[82:83], v80, s[10:11]
	s_waitcnt vmcnt(0)
	v_mul_f32_e32 v80, v85, v83
	v_mul_f32_e32 v87, v84, v83
	v_fma_f32 v86, v84, v82, -v80
	v_fmac_f32_e32 v87, v85, v82
	ds_write2_b64 v63, v[88:89], v[86:87] offset0:96 offset1:128
.LBB0_9:
	s_or_b64 exec, exec, s[0:1]
	s_waitcnt lgkmcnt(0)
	s_barrier
	s_and_saveexec_b64 s[0:1], vcc
	s_cbranch_execz .LBB0_11
; %bb.10:
	v_add_u32_e32 v0, 0x400, v92
	ds_read2_b64 v[40:43], v92 offset0:32 offset1:64
	ds_read_b64 v[98:99], v247
	ds_read2_b64 v[48:51], v92 offset0:96 offset1:128
	ds_read2_b64 v[52:55], v92 offset0:160 offset1:192
	;; [unrolled: 1-line block ×3, first 2 shown]
	v_add_u32_e32 v0, 0x800, v92
	ds_read2_b64 v[36:39], v0 offset0:32 offset1:64
	ds_read2_b64 v[44:47], v0 offset0:96 offset1:128
	;; [unrolled: 1-line block ×3, first 2 shown]
	v_add_u32_e32 v0, 0xc00, v92
	ds_read2_b64 v[0:3], v0 offset0:96 offset1:128
.LBB0_11:
	s_or_b64 exec, exec, s[0:1]
	v_mov_b32_e32 v120, v78
	v_mov_b32_e32 v121, v78
	;; [unrolled: 1-line block ×33, first 2 shown]
	s_waitcnt lgkmcnt(0)
	s_barrier
	s_and_saveexec_b64 s[0:1], vcc
	s_cbranch_execz .LBB0_13
; %bb.12:
	v_pk_add_f32 v[82:83], v[40:41], v[98:99]
	v_pk_add_f32 v[216:217], v[40:41], v[2:3] neg_lo:[0,1] neg_hi:[0,1]
	v_pk_add_f32 v[82:83], v[42:43], v[82:83]
	s_mov_b32 s26, 0xbeb8f4ab
	v_pk_add_f32 v[82:83], v[48:49], v[82:83]
	v_pk_add_f32 v[212:213], v[2:3], v[40:41]
	;; [unrolled: 1-line block ×3, first 2 shown]
	v_pk_add_f32 v[214:215], v[42:43], v[0:1] neg_lo:[0,1] neg_hi:[0,1]
	v_pk_add_f32 v[82:83], v[52:53], v[82:83]
	v_pk_add_f32 v[210:211], v[0:1], v[42:43]
	v_pk_add_f32 v[82:83], v[54:55], v[82:83]
	s_mov_b32 s16, 0x3f6eb680
	v_pk_add_f32 v[82:83], v[32:33], v[82:83]
	s_mov_b32 s42, 0xbf2c7751
	v_pk_add_f32 v[82:83], v[34:35], v[82:83]
	v_pk_add_f32 v[192:193], v[52:53], v[46:47] neg_lo:[0,1] neg_hi:[0,1]
	v_pk_add_f32 v[82:83], v[36:37], v[82:83]
	v_pk_add_f32 v[186:187], v[46:47], v[52:53]
	;; [unrolled: 1-line block ×3, first 2 shown]
	v_pk_add_f32 v[168:169], v[32:33], v[38:39] neg_lo:[0,1] neg_hi:[0,1]
	v_pk_add_f32 v[82:83], v[44:45], v[82:83]
	v_pk_add_f32 v[162:163], v[38:39], v[32:33]
	;; [unrolled: 1-line block ×3, first 2 shown]
	s_mov_b32 s14, 0x3f3d2fb0
	v_pk_add_f32 v[82:83], v[56:57], v[82:83]
	v_pk_mul_f32 v[32:33], v[214:215], s[42:43] op_sel_hi:[1,0]
	v_pk_add_f32 v[82:83], v[58:59], v[82:83]
	v_pk_add_f32 v[208:209], v[48:49], v[58:59] neg_lo:[0,1] neg_hi:[0,1]
	v_pk_add_f32 v[82:83], v[0:1], v[82:83]
	v_pk_mul_f32 v[0:1], v[216:217], s[26:27] op_sel_hi:[1,0]
	v_pk_add_f32 v[82:83], v[2:3], v[82:83]
	v_pk_fma_f32 v[2:3], v[212:213], s[16:17], v[0:1] op_sel:[0,0,1] op_sel_hi:[1,0,0]
	v_pk_fma_f32 v[52:53], v[212:213], s[16:17], v[0:1] op_sel:[0,0,1] op_sel_hi:[1,0,0] neg_lo:[0,0,1] neg_hi:[0,0,1]
	v_pk_add_f32 v[206:207], v[58:59], v[48:49]
	v_mov_b32_e32 v0, v2
	v_accvgpr_write_b32 a1, v3
	v_mov_b32_e32 v1, v53
	v_pk_fma_f32 v[2:3], v[210:211], s[14:15], v[32:33] op_sel:[0,0,1] op_sel_hi:[1,0,0]
	v_pk_fma_f32 v[48:49], v[210:211], s[14:15], v[32:33] op_sel:[0,0,1] op_sel_hi:[1,0,0] neg_lo:[0,0,1] neg_hi:[0,0,1]
	v_pk_add_f32 v[0:1], v[98:99], v[0:1]
	v_mov_b32_e32 v32, v2
	v_mov_b32_e32 v33, v49
	s_mov_b32 s48, 0xbf65296c
	v_pk_add_f32 v[0:1], v[32:33], v[0:1]
	s_mov_b32 s12, 0x3ee437d1
	v_pk_mul_f32 v[32:33], v[208:209], s[48:49] op_sel_hi:[1,0]
	v_accvgpr_write_b32 a3, v3
	v_pk_fma_f32 v[2:3], v[206:207], s[12:13], v[32:33] op_sel:[0,0,1] op_sel_hi:[1,0,0]
	v_pk_fma_f32 v[38:39], v[206:207], s[12:13], v[32:33] op_sel:[0,0,1] op_sel_hi:[1,0,0] neg_lo:[0,0,1] neg_hi:[0,0,1]
	v_pk_add_f32 v[204:205], v[50:51], v[56:57] neg_lo:[0,1] neg_hi:[0,1]
	v_mov_b32_e32 v32, v2
	v_mov_b32_e32 v33, v39
	s_mov_b32 s38, 0xbf7ee86f
	v_pk_add_f32 v[198:199], v[56:57], v[50:51]
	v_pk_add_f32 v[0:1], v[32:33], v[0:1]
	s_mov_b32 s10, 0x3dbcf732
	v_pk_mul_f32 v[32:33], v[204:205], s[38:39] op_sel_hi:[1,0]
	v_accvgpr_write_b32 a5, v3
	v_pk_fma_f32 v[2:3], v[198:199], s[10:11], v[32:33] op_sel:[0,0,1] op_sel_hi:[1,0,0]
	v_pk_fma_f32 v[42:43], v[198:199], s[10:11], v[32:33] op_sel:[0,0,1] op_sel_hi:[1,0,0] neg_lo:[0,0,1] neg_hi:[0,0,1]
	v_mov_b32_e32 v32, v2
	v_mov_b32_e32 v33, v43
	s_mov_b32 s20, 0xbf763a35
	v_pk_add_f32 v[0:1], v[32:33], v[0:1]
	s_mov_b32 s18, 0xbe8c1d8e
	v_pk_mul_f32 v[32:33], v[192:193], s[20:21] op_sel_hi:[1,0]
	v_accvgpr_write_b32 a7, v3
	v_pk_fma_f32 v[2:3], v[186:187], s[18:19], v[32:33] op_sel:[0,0,1] op_sel_hi:[1,0,0]
	v_pk_fma_f32 v[46:47], v[186:187], s[18:19], v[32:33] op_sel:[0,0,1] op_sel_hi:[1,0,0] neg_lo:[0,0,1] neg_hi:[0,0,1]
	v_pk_add_f32 v[180:181], v[54:55], v[44:45] neg_lo:[0,1] neg_hi:[0,1]
	v_mov_b32_e32 v32, v2
	v_mov_b32_e32 v33, v47
	s_mov_b32 s24, 0xbf4c4adb
	v_pk_add_f32 v[174:175], v[44:45], v[54:55]
	v_pk_add_f32 v[0:1], v[32:33], v[0:1]
	s_mov_b32 s22, 0xbf1a4643
	v_pk_mul_f32 v[32:33], v[180:181], s[24:25] op_sel_hi:[1,0]
	v_accvgpr_write_b32 a9, v3
	v_pk_fma_f32 v[2:3], v[174:175], s[22:23], v[32:33] op_sel:[0,0,1] op_sel_hi:[1,0,0]
	v_pk_fma_f32 v[50:51], v[174:175], s[22:23], v[32:33] op_sel:[0,0,1] op_sel_hi:[1,0,0] neg_lo:[0,0,1] neg_hi:[0,0,1]
	;; [unrolled: 20-line block ×3, first 2 shown]
	v_mov_b32_e32 v32, v2
	v_mov_b32_e32 v33, v59
	v_accvgpr_write_b32 a0, v123
	v_lshl_add_u32 v123, v62, 3, v244
	v_pk_add_f32 v[0:1], v[32:33], v[0:1]
	ds_write2_b64 v123, v[82:83], v[0:1] offset1:1
	v_pk_mul_f32 v[0:1], v[216:217], s[42:43] op_sel_hi:[1,0]
	v_accvgpr_write_b32 a15, v3
	v_pk_fma_f32 v[2:3], v[212:213], s[14:15], v[0:1] op_sel:[0,0,1] op_sel_hi:[1,0,0]
	v_pk_fma_f32 v[124:125], v[212:213], s[14:15], v[0:1] op_sel:[0,0,1] op_sel_hi:[1,0,0] neg_lo:[0,0,1] neg_hi:[0,0,1]
	v_pk_mul_f32 v[32:33], v[214:215], s[38:39] op_sel_hi:[1,0]
	v_mov_b32_e32 v0, v2
	v_mov_b32_e32 v53, v3
	;; [unrolled: 1-line block ×3, first 2 shown]
	v_pk_fma_f32 v[2:3], v[210:211], s[10:11], v[32:33] op_sel:[0,0,1] op_sel_hi:[1,0,0]
	v_pk_fma_f32 v[128:129], v[210:211], s[10:11], v[32:33] op_sel:[0,0,1] op_sel_hi:[1,0,0] neg_lo:[0,0,1] neg_hi:[0,0,1]
	v_pk_add_f32 v[0:1], v[98:99], v[0:1]
	v_mov_b32_e32 v32, v2
	v_mov_b32_e32 v33, v129
	v_pk_add_f32 v[0:1], v[32:33], v[0:1]
	v_pk_mul_f32 v[32:33], v[208:209], s[24:25] op_sel_hi:[1,0]
	v_mov_b32_e32 v55, v3
	v_pk_fma_f32 v[2:3], v[206:207], s[22:23], v[32:33] op_sel:[0,0,1] op_sel_hi:[1,0,0]
	v_mov_b32_e32 v49, v132
	v_mov_b32_e32 v51, v133
	v_pk_fma_f32 v[132:133], v[206:207], s[22:23], v[32:33] op_sel:[0,0,1] op_sel_hi:[1,0,0] neg_lo:[0,0,1] neg_hi:[0,0,1]
	v_mov_b32_e32 v32, v2
	v_mov_b32_e32 v33, v133
	v_pk_add_f32 v[0:1], v[32:33], v[0:1]
	v_pk_mul_f32 v[32:33], v[204:205], s[36:37] op_sel_hi:[1,0]
	v_mov_b32_e32 v59, v3
	v_pk_fma_f32 v[2:3], v[198:199], s[34:35], v[32:33] op_sel:[0,0,1] op_sel_hi:[1,0,0]
	v_accvgpr_write_b32 a2, v136
	v_pk_fma_f32 v[136:137], v[198:199], s[34:35], v[32:33] op_sel:[0,0,1] op_sel_hi:[1,0,0] neg_lo:[0,0,1] neg_hi:[0,0,1]
	v_mov_b32_e32 v32, v2
	v_mov_b32_e32 v33, v137
	s_mov_b32 s52, 0x3f06c442
	v_pk_add_f32 v[0:1], v[32:33], v[0:1]
	v_pk_mul_f32 v[32:33], v[192:193], s[52:53] op_sel_hi:[1,0]
	v_accvgpr_write_b32 a17, v3
	v_pk_fma_f32 v[2:3], v[186:187], s[28:29], v[32:33] op_sel:[0,0,1] op_sel_hi:[1,0,0]
	v_accvgpr_write_b32 a4, v140
	v_pk_fma_f32 v[140:141], v[186:187], s[28:29], v[32:33] op_sel:[0,0,1] op_sel_hi:[1,0,0] neg_lo:[0,0,1] neg_hi:[0,0,1]
	v_mov_b32_e32 v32, v2
	v_mov_b32_e32 v33, v141
	s_mov_b32 s50, 0x3f763a35
	v_pk_add_f32 v[0:1], v[32:33], v[0:1]
	v_pk_mul_f32 v[32:33], v[180:181], s[50:51] op_sel_hi:[1,0]
	v_accvgpr_write_b32 a19, v3
	;; [unrolled: 9-line block ×4, first 2 shown]
	v_pk_fma_f32 v[2:3], v[154:155], s[16:17], v[32:33] op_sel:[0,0,1] op_sel_hi:[1,0,0]
	v_pk_fma_f32 v[152:153], v[154:155], s[16:17], v[32:33] op_sel:[0,0,1] op_sel_hi:[1,0,0] neg_lo:[0,0,1] neg_hi:[0,0,1]
	v_mov_b32_e32 v32, v2
	v_mov_b32_e32 v33, v153
	v_pk_add_f32 v[0:1], v[32:33], v[0:1]
	v_pk_mul_f32 v[32:33], v[216:217], s[48:49] op_sel_hi:[1,0]
	v_accvgpr_write_b32 a25, v3
	v_pk_mul_f32 v[36:37], v[214:215], s[24:25] op_sel_hi:[1,0]
	v_pk_fma_f32 v[2:3], v[212:213], s[12:13], v[32:33] op_sel:[0,0,1] op_sel_hi:[1,0,0]
	v_pk_fma_f32 v[160:161], v[212:213], s[12:13], v[32:33] op_sel:[0,0,1] op_sel_hi:[1,0,0] neg_lo:[0,0,1] neg_hi:[0,0,1]
	s_mov_b32 s44, 0x3e3c28d5
	v_mov_b32_e32 v32, v2
	v_mov_b32_e32 v125, v3
	;; [unrolled: 1-line block ×3, first 2 shown]
	v_pk_fma_f32 v[2:3], v[210:211], s[22:23], v[36:37] op_sel:[0,0,1] op_sel_hi:[1,0,0]
	v_pk_fma_f32 v[166:167], v[210:211], s[22:23], v[36:37] op_sel:[0,0,1] op_sel_hi:[1,0,0] neg_lo:[0,0,1] neg_hi:[0,0,1]
	v_pk_mul_f32 v[40:41], v[208:209], s[44:45] op_sel_hi:[1,0]
	v_pk_add_f32 v[32:33], v[98:99], v[32:33]
	v_mov_b32_e32 v36, v2
	v_mov_b32_e32 v37, v167
	v_pk_add_f32 v[32:33], v[36:37], v[32:33]
	v_pk_fma_f32 v[36:37], v[206:207], s[34:35], v[40:41] op_sel:[0,0,1] op_sel_hi:[1,0,0]
	v_pk_fma_f32 v[172:173], v[206:207], s[34:35], v[40:41] op_sel:[0,0,1] op_sel_hi:[1,0,0] neg_lo:[0,0,1] neg_hi:[0,0,1]
	v_pk_mul_f32 v[44:45], v[204:205], s[50:51] op_sel_hi:[1,0]
	v_mov_b32_e32 v133, v37
	v_mov_b32_e32 v37, v173
	s_mov_b32 s44, 0x3f2c7751
	v_pk_add_f32 v[32:33], v[36:37], v[32:33]
	v_pk_fma_f32 v[36:37], v[198:199], s[18:19], v[44:45] op_sel:[0,0,1] op_sel_hi:[1,0,0]
	v_pk_fma_f32 v[178:179], v[198:199], s[18:19], v[44:45] op_sel:[0,0,1] op_sel_hi:[1,0,0] neg_lo:[0,0,1] neg_hi:[0,0,1]
	v_pk_mul_f32 v[82:83], v[192:193], s[44:45] op_sel_hi:[1,0]
	v_mov_b32_e32 v137, v37
	v_mov_b32_e32 v37, v179
	v_pk_add_f32 v[32:33], v[36:37], v[32:33]
	v_pk_fma_f32 v[36:37], v[186:187], s[14:15], v[82:83] op_sel:[0,0,1] op_sel_hi:[1,0,0]
	v_pk_fma_f32 v[184:185], v[186:187], s[14:15], v[82:83] op_sel:[0,0,1] op_sel_hi:[1,0,0] neg_lo:[0,0,1] neg_hi:[0,0,1]
	v_pk_mul_f32 v[84:85], v[180:181], s[26:27] op_sel_hi:[1,0]
	v_mov_b32_e32 v141, v37
	v_mov_b32_e32 v37, v185
	;; [unrolled: 6-line block ×4, first 2 shown]
	v_pk_add_f32 v[32:33], v[36:37], v[32:33]
	v_pk_fma_f32 v[36:37], v[154:155], s[28:29], v[88:89] op_sel:[0,0,1] op_sel_hi:[1,0,0]
	v_pk_fma_f32 v[202:203], v[154:155], s[28:29], v[88:89] op_sel:[0,0,1] op_sel_hi:[1,0,0] neg_lo:[0,0,1] neg_hi:[0,0,1]
	v_mov_b32_e32 v153, v37
	v_mov_b32_e32 v37, v203
	v_pk_add_f32 v[32:33], v[36:37], v[32:33]
	ds_write2_b64 v123, v[0:1], v[32:33] offset0:2 offset1:3
	v_pk_mul_f32 v[0:1], v[216:217], s[38:39] op_sel_hi:[1,0]
	v_mov_b32_e32 v129, v3
	v_pk_mul_f32 v[32:33], v[214:215], s[36:37] op_sel_hi:[1,0]
	v_pk_fma_f32 v[2:3], v[212:213], s[10:11], v[0:1] op_sel:[0,0,1] op_sel_hi:[1,0,0]
	v_pk_fma_f32 v[220:221], v[212:213], s[10:11], v[0:1] op_sel:[0,0,1] op_sel_hi:[1,0,0] neg_lo:[0,0,1] neg_hi:[0,0,1]
	v_mov_b32_e32 v0, v2
	v_mov_b32_e32 v161, v3
	;; [unrolled: 1-line block ×3, first 2 shown]
	v_pk_fma_f32 v[2:3], v[210:211], s[34:35], v[32:33] op_sel:[0,0,1] op_sel_hi:[1,0,0]
	v_pk_fma_f32 v[224:225], v[210:211], s[34:35], v[32:33] op_sel:[0,0,1] op_sel_hi:[1,0,0] neg_lo:[0,0,1] neg_hi:[0,0,1]
	v_pk_mul_f32 v[36:37], v[208:209], s[50:51] op_sel_hi:[1,0]
	v_pk_add_f32 v[0:1], v[98:99], v[0:1]
	v_mov_b32_e32 v32, v2
	v_mov_b32_e32 v33, v225
	v_pk_add_f32 v[0:1], v[32:33], v[0:1]
	v_pk_fma_f32 v[32:33], v[206:207], s[18:19], v[36:37] op_sel:[0,0,1] op_sel_hi:[1,0,0]
	v_pk_fma_f32 v[228:229], v[206:207], s[18:19], v[36:37] op_sel:[0,0,1] op_sel_hi:[1,0,0] neg_lo:[0,0,1] neg_hi:[0,0,1]
	v_pk_mul_f32 v[40:41], v[204:205], s[46:47] op_sel_hi:[1,0]
	v_mov_b32_e32 v173, v33
	v_mov_b32_e32 v33, v229
	v_pk_add_f32 v[0:1], v[32:33], v[0:1]
	v_pk_fma_f32 v[32:33], v[198:199], s[16:17], v[40:41] op_sel:[0,0,1] op_sel_hi:[1,0,0]
	v_pk_fma_f32 v[232:233], v[198:199], s[16:17], v[40:41] op_sel:[0,0,1] op_sel_hi:[1,0,0] neg_lo:[0,0,1] neg_hi:[0,0,1]
	v_pk_mul_f32 v[44:45], v[192:193], s[48:49] op_sel_hi:[1,0]
	;; [unrolled: 6-line block ×3, first 2 shown]
	v_mov_b32_e32 v185, v33
	v_mov_b32_e32 v33, v237
	v_pk_add_f32 v[0:1], v[32:33], v[0:1]
	v_pk_fma_f32 v[32:33], v[174:175], s[28:29], v[82:83] op_sel:[0,0,1] op_sel_hi:[1,0,0]
	v_pk_fma_f32 v[240:241], v[174:175], s[28:29], v[82:83] op_sel:[0,0,1] op_sel_hi:[1,0,0] neg_lo:[0,0,1] neg_hi:[0,0,1]
	v_mov_b32_e32 v191, v33
	v_mov_b32_e32 v33, v241
	s_mov_b32 s54, 0x3f4c4adb
	v_pk_add_f32 v[0:1], v[32:33], v[0:1]
	v_pk_mul_f32 v[32:33], v[168:169], s[54:55] op_sel_hi:[1,0]
	v_mov_b32_e32 v167, v3
	v_pk_fma_f32 v[2:3], v[162:163], s[22:23], v[32:33] op_sel:[0,0,1] op_sel_hi:[1,0,0]
	v_mov_b32_e32 v39, v245
	v_pk_fma_f32 v[244:245], v[162:163], s[22:23], v[32:33] op_sel:[0,0,1] op_sel_hi:[1,0,0] neg_lo:[0,0,1] neg_hi:[0,0,1]
	v_mov_b32_e32 v32, v2
	v_mov_b32_e32 v33, v245
	v_pk_add_f32 v[0:1], v[32:33], v[0:1]
	v_pk_mul_f32 v[32:33], v[156:157], s[44:45] op_sel_hi:[1,0]
	v_mov_b32_e32 v197, v3
	v_pk_fma_f32 v[2:3], v[154:155], s[14:15], v[32:33] op_sel:[0,0,1] op_sel_hi:[1,0,0]
	v_pk_fma_f32 v[248:249], v[154:155], s[14:15], v[32:33] op_sel:[0,0,1] op_sel_hi:[1,0,0] neg_lo:[0,0,1] neg_hi:[0,0,1]
	v_mov_b32_e32 v32, v2
	v_mov_b32_e32 v33, v249
	v_pk_add_f32 v[126:127], v[32:33], v[0:1]
	v_pk_mul_f32 v[0:1], v[216:217], s[20:21] op_sel_hi:[1,0]
	v_mov_b32_e32 v203, v3
	v_pk_fma_f32 v[2:3], v[212:213], s[18:19], v[0:1] op_sel:[0,0,1] op_sel_hi:[1,0,0]
	v_pk_fma_f32 v[250:251], v[212:213], s[18:19], v[0:1] op_sel:[0,0,1] op_sel_hi:[1,0,0] neg_lo:[0,0,1] neg_hi:[0,0,1]
	v_pk_mul_f32 v[32:33], v[214:215], s[52:53] op_sel_hi:[1,0]
	v_mov_b32_e32 v0, v2
	v_mov_b32_e32 v221, v3
	;; [unrolled: 1-line block ×3, first 2 shown]
	v_pk_fma_f32 v[2:3], v[210:211], s[28:29], v[32:33] op_sel:[0,0,1] op_sel_hi:[1,0,0]
	v_pk_fma_f32 v[254:255], v[210:211], s[28:29], v[32:33] op_sel:[0,0,1] op_sel_hi:[1,0,0] neg_lo:[0,0,1] neg_hi:[0,0,1]
	v_pk_add_f32 v[0:1], v[98:99], v[0:1]
	v_mov_b32_e32 v32, v2
	v_mov_b32_e32 v33, v255
	v_pk_add_f32 v[0:1], v[32:33], v[0:1]
	v_pk_mul_f32 v[32:33], v[208:209], s[44:45] op_sel_hi:[1,0]
	v_mov_b32_e32 v225, v3
	v_pk_fma_f32 v[2:3], v[206:207], s[14:15], v[32:33] op_sel:[0,0,1] op_sel_hi:[1,0,0]
	v_pk_fma_f32 v[82:83], v[206:207], s[14:15], v[32:33] op_sel:[0,0,1] op_sel_hi:[1,0,0] neg_lo:[0,0,1] neg_hi:[0,0,1]
	v_mov_b32_e32 v32, v2
	v_mov_b32_e32 v33, v83
	v_pk_add_f32 v[0:1], v[32:33], v[0:1]
	v_pk_mul_f32 v[32:33], v[204:205], s[48:49] op_sel_hi:[1,0]
	v_mov_b32_e32 v229, v3
	v_pk_fma_f32 v[2:3], v[198:199], s[12:13], v[32:33] op_sel:[0,0,1] op_sel_hi:[1,0,0]
	v_pk_fma_f32 v[86:87], v[198:199], s[12:13], v[32:33] op_sel:[0,0,1] op_sel_hi:[1,0,0] neg_lo:[0,0,1] neg_hi:[0,0,1]
	;; [unrolled: 7-line block ×3, first 2 shown]
	v_mov_b32_e32 v32, v2
	v_mov_b32_e32 v33, v91
	s_mov_b32 s48, 0x3f7ee86f
	v_pk_add_f32 v[0:1], v[32:33], v[0:1]
	v_pk_mul_f32 v[32:33], v[180:181], s[48:49] op_sel_hi:[1,0]
	v_mov_b32_e32 v237, v3
	v_pk_fma_f32 v[2:3], v[174:175], s[10:11], v[32:33] op_sel:[0,0,1] op_sel_hi:[1,0,0]
	v_pk_fma_f32 v[94:95], v[174:175], s[10:11], v[32:33] op_sel:[0,0,1] op_sel_hi:[1,0,0] neg_lo:[0,0,1] neg_hi:[0,0,1]
	v_mov_b32_e32 v32, v2
	v_mov_b32_e32 v33, v95
	v_pk_add_f32 v[32:33], v[32:33], v[0:1]
	v_pk_mul_f32 v[0:1], v[168:169], s[26:27] op_sel_hi:[1,0]
	v_mov_b32_e32 v43, v130
	v_pk_fma_f32 v[36:37], v[162:163], s[16:17], v[0:1] op_sel:[0,0,1] op_sel_hi:[1,0,0]
	v_pk_fma_f32 v[0:1], v[162:163], s[16:17], v[0:1] op_sel:[0,0,1] op_sel_hi:[1,0,0] neg_lo:[0,0,1] neg_hi:[0,0,1]
	v_mov_b32_e32 v245, v37
	v_mov_b32_e32 v37, v1
	v_mov_b32_e32 v47, v131
	v_pk_add_f32 v[130:131], v[36:37], v[32:33]
	v_pk_mul_f32 v[32:33], v[156:157], s[24:25] op_sel_hi:[1,0]
	v_accvgpr_write_b32 a6, v142
	v_pk_fma_f32 v[36:37], v[154:155], s[22:23], v[32:33] op_sel:[0,0,1] op_sel_hi:[1,0,0]
	v_pk_fma_f32 v[32:33], v[154:155], s[22:23], v[32:33] op_sel:[0,0,1] op_sel_hi:[1,0,0] neg_lo:[0,0,1] neg_hi:[0,0,1]
	v_mov_b32_e32 v249, v37
	v_mov_b32_e32 v37, v33
	v_pk_add_f32 v[36:37], v[36:37], v[130:131]
	ds_write2_b64 v123, v[126:127], v[36:37] offset0:4 offset1:5
	v_pk_mul_f32 v[36:37], v[216:217], s[24:25] op_sel_hi:[1,0]
	v_mov_b32_e32 v1, v92
	v_pk_fma_f32 v[126:127], v[212:213], s[22:23], v[36:37] op_sel:[0,0,1] op_sel_hi:[1,0,0]
	v_pk_fma_f32 v[36:37], v[212:213], s[22:23], v[36:37] op_sel:[0,0,1] op_sel_hi:[1,0,0] neg_lo:[0,0,1] neg_hi:[0,0,1]
	v_mov_b32_e32 v130, v126
	v_mov_b32_e32 v126, v138
	v_pk_mul_f32 v[138:139], v[214:215], s[50:51] op_sel_hi:[1,0]
	v_mov_b32_e32 v131, v37
	v_pk_fma_f32 v[96:97], v[210:211], s[18:19], v[138:139] op_sel:[0,0,1] op_sel_hi:[1,0,0]
	v_pk_fma_f32 v[138:139], v[210:211], s[18:19], v[138:139] op_sel:[0,0,1] op_sel_hi:[1,0,0] neg_lo:[0,0,1] neg_hi:[0,0,1]
	v_pk_add_f32 v[130:131], v[98:99], v[130:131]
	v_mov_b32_e32 v142, v96
	v_mov_b32_e32 v143, v139
	v_pk_add_f32 v[130:131], v[142:143], v[130:131]
	v_pk_mul_f32 v[142:143], v[208:209], s[26:27] op_sel_hi:[1,0]
	v_mov_b32_e32 v96, v150
	v_pk_fma_f32 v[92:93], v[206:207], s[16:17], v[142:143] op_sel:[0,0,1] op_sel_hi:[1,0,0]
	v_pk_fma_f32 v[142:143], v[206:207], s[16:17], v[142:143] op_sel:[0,0,1] op_sel_hi:[1,0,0] neg_lo:[0,0,1] neg_hi:[0,0,1]
	v_mov_b32_e32 v150, v92
	v_mov_b32_e32 v151, v143
	v_pk_add_f32 v[130:131], v[150:151], v[130:131]
	v_pk_mul_f32 v[150:151], v[204:205], s[30:31] op_sel_hi:[1,0]
	v_pk_mul_f32 v[238:239], v[214:215], s[40:41] op_sel_hi:[1,0]
	v_pk_fma_f32 v[88:89], v[198:199], s[28:29], v[150:151] op_sel:[0,0,1] op_sel_hi:[1,0,0]
	v_pk_fma_f32 v[150:151], v[198:199], s[28:29], v[150:151] op_sel:[0,0,1] op_sel_hi:[1,0,0] neg_lo:[0,0,1] neg_hi:[0,0,1]
	v_mov_b32_e32 v164, v88
	v_mov_b32_e32 v165, v151
	v_pk_add_f32 v[130:131], v[164:165], v[130:131]
	v_pk_mul_f32 v[164:165], v[192:193], s[48:49] op_sel_hi:[1,0]
	v_mov_b32_e32 v37, v247
	v_pk_fma_f32 v[84:85], v[186:187], s[10:11], v[164:165] op_sel:[0,0,1] op_sel_hi:[1,0,0]
	v_pk_fma_f32 v[164:165], v[186:187], s[10:11], v[164:165] op_sel:[0,0,1] op_sel_hi:[1,0,0] neg_lo:[0,0,1] neg_hi:[0,0,1]
	v_mov_b32_e32 v176, v84
	v_mov_b32_e32 v177, v165
	v_pk_add_f32 v[130:131], v[176:177], v[130:131]
	v_pk_mul_f32 v[176:177], v[180:181], s[42:43] op_sel_hi:[1,0]
	v_mov_b32_e32 v241, v3
	;; [unrolled: 7-line block ×5, first 2 shown]
	v_pk_fma_f32 v[234:235], v[212:213], s[28:29], v[222:223] op_sel:[0,0,1] op_sel_hi:[1,0,0]
	v_pk_fma_f32 v[222:223], v[212:213], s[28:29], v[222:223] op_sel:[0,0,1] op_sel_hi:[1,0,0] neg_lo:[0,0,1] neg_hi:[0,0,1]
	v_mov_b32_e32 v230, v234
	v_mov_b32_e32 v231, v223
	v_pk_fma_f32 v[246:247], v[210:211], s[12:13], v[238:239] op_sel:[0,0,1] op_sel_hi:[1,0,0]
	v_pk_fma_f32 v[238:239], v[210:211], s[12:13], v[238:239] op_sel:[0,0,1] op_sel_hi:[1,0,0] neg_lo:[0,0,1] neg_hi:[0,0,1]
	v_pk_add_f32 v[230:231], v[98:99], v[230:231]
	v_mov_b32_e32 v242, v246
	v_mov_b32_e32 v243, v239
	v_pk_add_f32 v[230:231], v[242:243], v[230:231]
	v_pk_mul_f32 v[242:243], v[208:209], s[38:39] op_sel_hi:[1,0]
	v_mov_b32_e32 v44, v135
	v_pk_fma_f32 v[252:253], v[206:207], s[10:11], v[242:243] op_sel:[0,0,1] op_sel_hi:[1,0,0]
	v_pk_fma_f32 v[242:243], v[206:207], s[10:11], v[242:243] op_sel:[0,0,1] op_sel_hi:[1,0,0] neg_lo:[0,0,1] neg_hi:[0,0,1]
	v_mov_b32_e32 v62, v252
	v_mov_b32_e32 v63, v243
	v_pk_add_f32 v[62:63], v[62:63], v[230:231]
	v_pk_mul_f32 v[230:231], v[204:205], s[54:55] op_sel_hi:[1,0]
	v_mov_b32_e32 v56, v146
	v_pk_fma_f32 v[34:35], v[198:199], s[22:23], v[230:231] op_sel:[0,0,1] op_sel_hi:[1,0,0]
	v_pk_fma_f32 v[230:231], v[198:199], s[22:23], v[230:231] op_sel:[0,0,1] op_sel_hi:[1,0,0] neg_lo:[0,0,1] neg_hi:[0,0,1]
	;; [unrolled: 7-line block ×5, first 2 shown]
	v_mov_b32_e32 v170, v182
	v_mov_b32_e32 v33, v171
	;; [unrolled: 1-line block ×3, first 2 shown]
	v_pk_add_f32 v[2:3], v[170:171], v[2:3]
	v_pk_mul_f32 v[170:171], v[156:157], s[20:21] op_sel_hi:[1,0]
	v_pk_mul_f32 v[208:209], v[208:209], s[30:31] op_sel_hi:[1,0]
	v_pk_fma_f32 v[218:219], v[154:155], s[18:19], v[170:171] op_sel:[0,0,1] op_sel_hi:[1,0,0]
	v_pk_fma_f32 v[170:171], v[154:155], s[18:19], v[170:171] op_sel:[0,0,1] op_sel_hi:[1,0,0] neg_lo:[0,0,1] neg_hi:[0,0,1]
	v_mov_b32_e32 v194, v218
	v_mov_b32_e32 v195, v171
	v_pk_add_f32 v[2:3], v[194:195], v[2:3]
	ds_write2_b64 v123, v[130:131], v[2:3] offset0:6 offset1:7
	v_pk_mul_f32 v[2:3], v[216:217], s[36:37] op_sel_hi:[1,0]
	v_pk_mul_f32 v[194:195], v[214:215], s[46:47] op_sel_hi:[1,0]
	v_pk_fma_f32 v[130:131], v[212:213], s[34:35], v[2:3] op_sel:[0,0,1] op_sel_hi:[1,0,0]
	v_pk_fma_f32 v[2:3], v[212:213], s[34:35], v[2:3] op_sel:[0,0,1] op_sel_hi:[1,0,0] neg_lo:[0,0,1] neg_hi:[0,0,1]
	v_pk_fma_f32 v[212:213], v[210:211], s[16:17], v[194:195] op_sel:[0,0,1] op_sel_hi:[1,0,0]
	v_pk_fma_f32 v[194:195], v[210:211], s[16:17], v[194:195] op_sel:[0,0,1] op_sel_hi:[1,0,0] neg_lo:[0,0,1] neg_hi:[0,0,1]
	v_mov_b32_e32 v210, v130
	v_mov_b32_e32 v211, v3
	v_pk_add_f32 v[210:211], v[98:99], v[210:211]
	v_mov_b32_e32 v214, v212
	v_mov_b32_e32 v215, v195
	v_pk_add_f32 v[210:211], v[214:215], v[210:211]
	v_pk_fma_f32 v[214:215], v[206:207], s[28:29], v[208:209] op_sel:[0,0,1] op_sel_hi:[1,0,0]
	v_pk_fma_f32 v[206:207], v[206:207], s[28:29], v[208:209] op_sel:[0,0,1] op_sel_hi:[1,0,0] neg_lo:[0,0,1] neg_hi:[0,0,1]
	v_mov_b32_e32 v208, v214
	v_mov_b32_e32 v209, v207
	v_pk_mul_f32 v[204:205], v[204:205], s[44:45] op_sel_hi:[1,0]
	v_pk_add_f32 v[208:209], v[208:209], v[210:211]
	v_pk_fma_f32 v[210:211], v[198:199], s[14:15], v[204:205] op_sel:[0,0,1] op_sel_hi:[1,0,0]
	v_pk_fma_f32 v[198:199], v[198:199], s[14:15], v[204:205] op_sel:[0,0,1] op_sel_hi:[1,0,0] neg_lo:[0,0,1] neg_hi:[0,0,1]
	v_mov_b32_e32 v204, v210
	v_mov_b32_e32 v205, v199
	v_pk_mul_f32 v[192:193], v[192:193], s[24:25] op_sel_hi:[1,0]
	v_pk_add_f32 v[204:205], v[204:205], v[208:209]
	v_pk_fma_f32 v[208:209], v[186:187], s[22:23], v[192:193] op_sel:[0,0,1] op_sel_hi:[1,0,0]
	v_pk_fma_f32 v[186:187], v[186:187], s[22:23], v[192:193] op_sel:[0,0,1] op_sel_hi:[1,0,0] neg_lo:[0,0,1] neg_hi:[0,0,1]
	v_mov_b32_e32 v3, v131
	v_mov_b32_e32 v192, v208
	;; [unrolled: 1-line block ×3, first 2 shown]
	v_pk_mul_f32 v[180:181], v[180:181], s[40:41] op_sel_hi:[1,0]
	v_mov_b32_e32 v195, v213
	v_pk_add_f32 v[2:3], v[98:99], v[2:3]
	v_pk_add_f32 v[192:193], v[192:193], v[204:205]
	v_pk_fma_f32 v[204:205], v[174:175], s[12:13], v[180:181] op_sel:[0,0,1] op_sel_hi:[1,0,0]
	v_pk_fma_f32 v[174:175], v[174:175], s[12:13], v[180:181] op_sel:[0,0,1] op_sel_hi:[1,0,0] neg_lo:[0,0,1] neg_hi:[0,0,1]
	v_pk_add_f32 v[2:3], v[194:195], v[2:3]
	v_mov_b32_e32 v207, v215
	v_mov_b32_e32 v180, v204
	;; [unrolled: 1-line block ×3, first 2 shown]
	v_pk_mul_f32 v[168:169], v[168:169], s[20:21] op_sel_hi:[1,0]
	v_pk_add_f32 v[2:3], v[206:207], v[2:3]
	v_mov_b32_e32 v199, v211
	v_pk_add_f32 v[180:181], v[180:181], v[192:193]
	v_pk_fma_f32 v[192:193], v[162:163], s[18:19], v[168:169] op_sel:[0,0,1] op_sel_hi:[1,0,0]
	v_pk_fma_f32 v[162:163], v[162:163], s[18:19], v[168:169] op_sel:[0,0,1] op_sel_hi:[1,0,0] neg_lo:[0,0,1] neg_hi:[0,0,1]
	v_pk_add_f32 v[2:3], v[198:199], v[2:3]
	v_mov_b32_e32 v187, v209
	v_mov_b32_e32 v168, v192
	;; [unrolled: 1-line block ×3, first 2 shown]
	v_pk_mul_f32 v[156:157], v[156:157], s[48:49] op_sel_hi:[1,0]
	v_pk_add_f32 v[2:3], v[186:187], v[2:3]
	v_mov_b32_e32 v175, v205
	v_pk_add_f32 v[168:169], v[168:169], v[180:181]
	v_pk_fma_f32 v[180:181], v[154:155], s[10:11], v[156:157] op_sel:[0,0,1] op_sel_hi:[1,0,0]
	v_pk_fma_f32 v[154:155], v[154:155], s[10:11], v[156:157] op_sel:[0,0,1] op_sel_hi:[1,0,0] neg_lo:[0,0,1] neg_hi:[0,0,1]
	v_pk_add_f32 v[2:3], v[174:175], v[2:3]
	v_mov_b32_e32 v163, v193
	v_mov_b32_e32 v156, v180
	;; [unrolled: 1-line block ×3, first 2 shown]
	v_pk_add_f32 v[2:3], v[162:163], v[2:3]
	v_mov_b32_e32 v155, v181
	v_pk_add_f32 v[156:157], v[156:157], v[168:169]
	v_pk_add_f32 v[2:3], v[154:155], v[2:3]
	v_mov_b32_e32 v223, v235
	ds_write2_b64 v123, v[156:157], v[2:3] offset0:8 offset1:9
	v_mov_b32_e32 v239, v247
	v_pk_add_f32 v[2:3], v[98:99], v[222:223]
	v_mov_b32_e32 v243, v253
	v_pk_add_f32 v[2:3], v[238:239], v[2:3]
	;; [unrolled: 2-line block ×5, first 2 shown]
	v_mov_b32_e32 v81, v159
	v_mov_b32_e32 v37, v127
	v_pk_add_f32 v[2:3], v[80:81], v[2:3]
	v_mov_b32_e32 v81, v34
	v_mov_b32_e32 v139, v97
	v_pk_add_f32 v[34:35], v[98:99], v[36:37]
	v_mov_b32_e32 v143, v93
	v_pk_add_f32 v[34:35], v[138:139], v[34:35]
	;; [unrolled: 2-line block ×9, first 2 shown]
	v_pk_add_f32 v[34:35], v[200:201], v[34:35]
	v_mov_b32_e32 v251, v221
	ds_write2_b64 v123, v[2:3], v[34:35] offset0:10 offset1:11
	v_mov_b32_e32 v255, v225
	v_pk_add_f32 v[2:3], v[98:99], v[250:251]
	v_mov_b32_e32 v83, v229
	v_pk_add_f32 v[2:3], v[254:255], v[2:3]
	;; [unrolled: 2-line block ×6, first 2 shown]
	v_mov_b32_e32 v1, v245
	v_mov_b32_e32 v221, v161
	v_pk_add_f32 v[0:1], v[0:1], v[2:3]
	v_pk_add_f32 v[2:3], v[98:99], v[220:221]
	v_mov_b32_e32 v225, v167
	v_pk_add_f32 v[2:3], v[224:225], v[2:3]
	v_mov_b32_e32 v229, v173
	;; [unrolled: 2-line block ×6, first 2 shown]
	v_mov_b32_e32 v171, v33
	v_mov_b32_e32 v33, v249
	v_pk_add_f32 v[2:3], v[244:245], v[2:3]
	v_mov_b32_e32 v249, v203
	v_pk_add_f32 v[0:1], v[32:33], v[0:1]
	v_pk_add_f32 v[2:3], v[248:249], v[2:3]
	v_mov_b32_e32 v161, v125
	v_mov_b32_e32 v125, v53
	ds_write2_b64 v123, v[0:1], v[2:3] offset0:12 offset1:13
	v_pk_add_f32 v[0:1], v[98:99], v[160:161]
	v_mov_b32_e32 v167, v129
	v_pk_add_f32 v[2:3], v[98:99], v[124:125]
	v_mov_b32_e32 v129, v55
	;; [unrolled: 2-line block ×5, first 2 shown]
	v_pk_add_f32 v[2:3], v[132:133], v[2:3]
	v_accvgpr_read_b32 v137, a17
	v_pk_add_f32 v[0:1], v[178:179], v[0:1]
	v_mov_b32_e32 v185, v141
	v_pk_add_f32 v[2:3], v[136:137], v[2:3]
	v_accvgpr_read_b32 v141, a19
	v_pk_add_f32 v[0:1], v[184:185], v[0:1]
	v_mov_b32_e32 v191, v145
	;; [unrolled: 4-line block ×4, first 2 shown]
	v_pk_add_f32 v[2:3], v[148:149], v[2:3]
	v_accvgpr_read_b32 v153, a25
	v_pk_add_f32 v[0:1], v[202:203], v[0:1]
	v_pk_add_f32 v[2:3], v[152:153], v[2:3]
	v_accvgpr_read_b32 v53, a1
	v_mov_b32_e32 v132, v49
	ds_write2_b64 v123, v[0:1], v[2:3] offset0:14 offset1:15
	v_pk_add_f32 v[0:1], v[98:99], v[52:53]
	v_accvgpr_read_b32 v49, a3
	v_mov_b32_e32 v245, v39
	v_pk_add_f32 v[0:1], v[48:49], v[0:1]
	v_accvgpr_read_b32 v39, a5
	v_mov_b32_e32 v130, v43
	;; [unrolled: 3-line block ×4, first 2 shown]
	v_pk_add_f32 v[0:1], v[46:47], v[0:1]
	v_accvgpr_read_b32 v51, a11
	v_pk_add_f32 v[0:1], v[50:51], v[0:1]
	v_accvgpr_read_b32 v55, a13
	;; [unrolled: 2-line block ×3, first 2 shown]
	v_pk_add_f32 v[0:1], v[58:59], v[0:1]
	v_mov_b32_e32 v246, v40
	v_mov_b32_e32 v135, v44
	;; [unrolled: 1-line block ×4, first 2 shown]
	v_accvgpr_read_b32 v142, a6
	v_mov_b32_e32 v150, v96
	v_accvgpr_read_b32 v136, a2
	v_accvgpr_read_b32 v140, a4
	;; [unrolled: 1-line block ×4, first 2 shown]
	ds_write_b64 v123, v[0:1] offset:128
	v_accvgpr_read_b32 v123, a0
.LBB0_13:
	s_or_b64 exec, exec, s[0:1]
	v_add_u32_e32 v80, 0x800, v122
	s_waitcnt lgkmcnt(0)
	s_barrier
	ds_read2_b64 v[0:3], v80 offset0:220 offset1:254
	ds_read2_b64 v[32:35], v122 offset0:204 offset1:238
	s_mov_b32 s0, 0x3f3504f3
	s_mov_b32 s10, 0x3f6c835e
	;; [unrolled: 1-line block ×3, first 2 shown]
	s_waitcnt lgkmcnt(1)
	v_pk_mul_f32 v[36:37], v[78:79], v[2:3]
	s_nop 0
	v_pk_fma_f32 v[38:39], v[120:121], v[2:3], v[36:37] op_sel:[0,0,1] op_sel_hi:[1,1,0]
	v_pk_fma_f32 v[2:3], v[120:121], v[2:3], v[36:37] op_sel:[0,0,1] op_sel_hi:[1,1,0] neg_lo:[0,0,1] neg_hi:[0,0,1]
	s_nop 0
	v_mov_b32_e32 v39, v3
	v_pk_mul_f32 v[2:3], v[76:77], v[0:1]
	s_waitcnt lgkmcnt(0)
	v_pk_add_f32 v[40:41], v[34:35], v[38:39] neg_lo:[0,1] neg_hi:[0,1]
	v_pk_fma_f32 v[36:37], v[118:119], v[0:1], v[2:3] op_sel:[0,0,1] op_sel_hi:[1,1,0]
	v_pk_fma_f32 v[38:39], v[118:119], v[0:1], v[2:3] op_sel:[0,0,1] op_sel_hi:[1,1,0] neg_lo:[0,0,1] neg_hi:[0,0,1]
	ds_read2_b64 v[0:3], v80 offset0:152 offset1:186
	v_mov_b32_e32 v37, v39
	v_pk_add_f32 v[42:43], v[32:33], v[36:37] neg_lo:[0,1] neg_hi:[0,1]
	ds_read2_b64 v[36:39], v122 offset0:136 offset1:170
	v_pk_fma_f32 v[32:33], v[32:33], 2.0, v[42:43] op_sel_hi:[1,0,1] neg_lo:[0,0,1] neg_hi:[0,0,1]
	s_waitcnt lgkmcnt(1)
	v_pk_mul_f32 v[44:45], v[74:75], v[2:3]
	s_nop 0
	v_pk_fma_f32 v[46:47], v[116:117], v[2:3], v[44:45] op_sel:[0,0,1] op_sel_hi:[1,1,0]
	v_pk_fma_f32 v[2:3], v[116:117], v[2:3], v[44:45] op_sel:[0,0,1] op_sel_hi:[1,1,0] neg_lo:[0,0,1] neg_hi:[0,0,1]
	s_nop 0
	v_mov_b32_e32 v47, v3
	s_waitcnt lgkmcnt(0)
	v_pk_add_f32 v[44:45], v[38:39], v[46:47] neg_lo:[0,1] neg_hi:[0,1]
	v_pk_mul_f32 v[2:3], v[72:73], v[0:1]
	v_pk_fma_f32 v[46:47], v[38:39], 2.0, v[44:45] op_sel_hi:[1,0,1] neg_lo:[0,0,1] neg_hi:[0,0,1]
	v_pk_fma_f32 v[38:39], v[114:115], v[0:1], v[2:3] op_sel:[0,0,1] op_sel_hi:[1,1,0]
	v_pk_fma_f32 v[48:49], v[114:115], v[0:1], v[2:3] op_sel:[0,0,1] op_sel_hi:[1,1,0] neg_lo:[0,0,1] neg_hi:[0,0,1]
	ds_read2_b64 v[0:3], v80 offset0:84 offset1:118
	v_mov_b32_e32 v39, v49
	v_pk_add_f32 v[48:49], v[36:37], v[38:39] neg_lo:[0,1] neg_hi:[0,1]
	s_waitcnt lgkmcnt(0)
	v_pk_mul_f32 v[52:53], v[70:71], v[2:3]
	v_pk_fma_f32 v[50:51], v[36:37], 2.0, v[48:49] op_sel_hi:[1,0,1] neg_lo:[0,0,1] neg_hi:[0,0,1]
	ds_read2_b64 v[36:39], v122 offset0:68 offset1:102
	v_pk_fma_f32 v[54:55], v[112:113], v[2:3], v[52:53] op_sel:[0,0,1] op_sel_hi:[1,1,0]
	v_pk_fma_f32 v[2:3], v[112:113], v[2:3], v[52:53] op_sel:[0,0,1] op_sel_hi:[1,1,0] neg_lo:[0,0,1] neg_hi:[0,0,1]
	s_nop 0
	v_mov_b32_e32 v55, v3
	s_waitcnt lgkmcnt(0)
	v_pk_add_f32 v[52:53], v[38:39], v[54:55] neg_lo:[0,1] neg_hi:[0,1]
	v_pk_mul_f32 v[2:3], v[68:69], v[0:1]
	v_pk_fma_f32 v[54:55], v[38:39], 2.0, v[52:53] op_sel_hi:[1,0,1] neg_lo:[0,0,1] neg_hi:[0,0,1]
	v_pk_fma_f32 v[38:39], v[110:111], v[0:1], v[2:3] op_sel:[0,0,1] op_sel_hi:[1,1,0]
	v_pk_fma_f32 v[56:57], v[110:111], v[0:1], v[2:3] op_sel:[0,0,1] op_sel_hi:[1,1,0] neg_lo:[0,0,1] neg_hi:[0,0,1]
	ds_read2_b64 v[0:3], v80 offset0:16 offset1:50
	v_mov_b32_e32 v39, v57
	v_pk_add_f32 v[56:57], v[36:37], v[38:39] neg_lo:[0,1] neg_hi:[0,1]
	s_waitcnt lgkmcnt(0)
	v_pk_mul_f32 v[62:63], v[66:67], v[2:3]
	v_pk_fma_f32 v[58:59], v[36:37], 2.0, v[56:57] op_sel_hi:[1,0,1] neg_lo:[0,0,1] neg_hi:[0,0,1]
	ds_read2_b64 v[36:39], v122 offset1:34
	v_pk_fma_f32 v[66:67], v[108:109], v[2:3], v[62:63] op_sel:[0,0,1] op_sel_hi:[1,1,0]
	v_pk_fma_f32 v[2:3], v[108:109], v[2:3], v[62:63] op_sel:[0,0,1] op_sel_hi:[1,1,0] neg_lo:[0,0,1] neg_hi:[0,0,1]
	v_pk_mul_f32 v[62:63], v[64:65], v[0:1]
	v_mov_b32_e32 v67, v3
	v_pk_fma_f32 v[64:65], v[106:107], v[0:1], v[62:63] op_sel:[0,0,1] op_sel_hi:[1,1,0]
	v_pk_fma_f32 v[0:1], v[106:107], v[0:1], v[62:63] op_sel:[0,0,1] op_sel_hi:[1,1,0] neg_lo:[0,0,1] neg_hi:[0,0,1]
	s_waitcnt lgkmcnt(0)
	v_pk_add_f32 v[2:3], v[38:39], v[66:67] neg_lo:[0,1] neg_hi:[0,1]
	v_mov_b32_e32 v65, v1
	v_pk_add_f32 v[0:1], v[36:37], v[64:65] neg_lo:[0,1] neg_hi:[0,1]
	v_pk_fma_f32 v[38:39], v[38:39], 2.0, v[2:3] op_sel_hi:[1,0,1] neg_lo:[0,0,1] neg_hi:[0,0,1]
	v_pk_fma_f32 v[36:37], v[36:37], 2.0, v[0:1] op_sel_hi:[1,0,1] neg_lo:[0,0,1] neg_hi:[0,0,1]
	s_barrier
	ds_write2_b64 v81, v[36:37], v[0:1] offset1:17
	ds_write2_b64 v123, v[38:39], v[2:3] offset1:17
	;; [unrolled: 1-line block ×7, first 2 shown]
	v_pk_fma_f32 v[0:1], v[34:35], 2.0, v[40:41] op_sel_hi:[1,0,1] neg_lo:[0,0,1] neg_hi:[0,0,1]
	ds_write2_b64 v135, v[0:1], v[40:41] offset1:17
	s_waitcnt lgkmcnt(0)
	s_barrier
	ds_read2_b64 v[0:3], v122 offset1:34
	ds_read2_b64 v[32:35], v122 offset0:68 offset1:102
	ds_read2_b64 v[36:39], v122 offset0:136 offset1:170
	;; [unrolled: 1-line block ×7, first 2 shown]
	s_waitcnt lgkmcnt(7)
	v_pk_mul_f32 v[62:63], v[138:139], v[2:3] op_sel_hi:[0,1]
	v_pk_fma_f32 v[64:65], v[16:17], v[2:3], v[62:63] op_sel:[0,0,1] op_sel_hi:[1,1,0]
	v_pk_fma_f32 v[2:3], v[16:17], v[2:3], v[62:63] op_sel:[0,0,1] op_sel_hi:[0,1,0] neg_lo:[0,0,1] neg_hi:[0,0,1]
	v_mov_b32_e32 v65, v3
	s_waitcnt lgkmcnt(6)
	v_pk_mul_f32 v[2:3], v[144:145], v[32:33] op_sel_hi:[0,1]
	v_pk_fma_f32 v[16:17], v[18:19], v[32:33], v[2:3] op_sel:[0,0,1] op_sel_hi:[1,1,0]
	v_pk_fma_f32 v[2:3], v[18:19], v[32:33], v[2:3] op_sel:[0,0,1] op_sel_hi:[0,1,0] neg_lo:[0,0,1] neg_hi:[0,0,1]
	v_mov_b32_e32 v17, v3
	v_pk_mul_f32 v[2:3], v[12:13], v[34:35] op_sel:[1,0]
	s_nop 0
	v_pk_fma_f32 v[18:19], v[12:13], v[34:35], v[2:3] op_sel:[0,0,1] op_sel_hi:[1,1,0]
	v_pk_fma_f32 v[2:3], v[12:13], v[34:35], v[2:3] op_sel:[0,0,1] op_sel_hi:[0,1,0] neg_lo:[0,0,1] neg_hi:[0,0,1]
	v_mov_b32_e32 v19, v3
	s_waitcnt lgkmcnt(5)
	v_pk_mul_f32 v[2:3], v[14:15], v[36:37]
	s_nop 0
	v_pk_fma_f32 v[12:13], v[104:105], v[36:37], v[2:3] op_sel:[0,0,1] op_sel_hi:[1,1,0]
	v_pk_fma_f32 v[2:3], v[104:105], v[36:37], v[2:3] op_sel:[0,0,1] op_sel_hi:[1,1,0] neg_lo:[0,0,1] neg_hi:[0,0,1]
	s_nop 0
	v_mov_b32_e32 v13, v3
	v_pk_mul_f32 v[2:3], v[136:137], v[38:39] op_sel_hi:[0,1]
	v_pk_fma_f32 v[14:15], v[8:9], v[38:39], v[2:3] op_sel:[0,0,1] op_sel_hi:[1,1,0]
	v_pk_fma_f32 v[2:3], v[8:9], v[38:39], v[2:3] op_sel:[0,0,1] op_sel_hi:[0,1,0] neg_lo:[0,0,1] neg_hi:[0,0,1]
	v_mov_b32_e32 v15, v3
	s_waitcnt lgkmcnt(4)
	v_pk_mul_f32 v[2:3], v[140:141], v[40:41] op_sel_hi:[0,1]
	v_pk_fma_f32 v[8:9], v[10:11], v[40:41], v[2:3] op_sel:[0,0,1] op_sel_hi:[1,1,0]
	v_pk_fma_f32 v[2:3], v[10:11], v[40:41], v[2:3] op_sel:[0,0,1] op_sel_hi:[0,1,0] neg_lo:[0,0,1] neg_hi:[0,0,1]
	v_mov_b32_e32 v9, v3
	v_pk_mul_f32 v[2:3], v[4:5], v[42:43] op_sel:[1,0]
	s_nop 0
	v_pk_fma_f32 v[10:11], v[4:5], v[42:43], v[2:3] op_sel:[0,0,1] op_sel_hi:[1,1,0]
	v_pk_fma_f32 v[2:3], v[4:5], v[42:43], v[2:3] op_sel:[0,0,1] op_sel_hi:[0,1,0] neg_lo:[0,0,1] neg_hi:[0,0,1]
	v_mov_b32_e32 v11, v3
	s_waitcnt lgkmcnt(3)
	v_pk_mul_f32 v[2:3], v[6:7], v[44:45]
	s_nop 0
	v_pk_fma_f32 v[4:5], v[102:103], v[44:45], v[2:3] op_sel:[0,0,1] op_sel_hi:[1,1,0]
	v_pk_fma_f32 v[2:3], v[102:103], v[44:45], v[2:3] op_sel:[0,0,1] op_sel_hi:[1,1,0] neg_lo:[0,0,1] neg_hi:[0,0,1]
	s_nop 0
	v_mov_b32_e32 v5, v3
	v_pk_mul_f32 v[2:3], v[146:147], v[46:47] op_sel_hi:[0,1]
	v_pk_fma_f32 v[6:7], v[28:29], v[46:47], v[2:3] op_sel:[0,0,1] op_sel_hi:[1,1,0]
	v_pk_fma_f32 v[2:3], v[28:29], v[46:47], v[2:3] op_sel:[0,0,1] op_sel_hi:[0,1,0] neg_lo:[0,0,1] neg_hi:[0,0,1]
	v_mov_b32_e32 v7, v3
	s_waitcnt lgkmcnt(2)
	v_pk_mul_f32 v[2:3], v[150:151], v[48:49] op_sel_hi:[0,1]
	v_pk_fma_f32 v[28:29], v[30:31], v[48:49], v[2:3] op_sel:[0,0,1] op_sel_hi:[1,1,0]
	v_pk_fma_f32 v[2:3], v[30:31], v[48:49], v[2:3] op_sel:[0,0,1] op_sel_hi:[0,1,0] neg_lo:[0,0,1] neg_hi:[0,0,1]
	v_mov_b32_e32 v29, v3
	v_pk_mul_f32 v[2:3], v[24:25], v[50:51] op_sel:[1,0]
	v_pk_add_f32 v[6:7], v[64:65], v[6:7] neg_lo:[0,1] neg_hi:[0,1]
	v_pk_fma_f32 v[30:31], v[24:25], v[50:51], v[2:3] op_sel:[0,0,1] op_sel_hi:[1,1,0]
	v_pk_fma_f32 v[2:3], v[24:25], v[50:51], v[2:3] op_sel:[0,0,1] op_sel_hi:[0,1,0] neg_lo:[0,0,1] neg_hi:[0,0,1]
	v_mov_b32_e32 v31, v3
	s_waitcnt lgkmcnt(1)
	v_pk_mul_f32 v[2:3], v[26:27], v[52:53]
	v_pk_add_f32 v[30:31], v[18:19], v[30:31] neg_lo:[0,1] neg_hi:[0,1]
	v_pk_fma_f32 v[24:25], v[100:101], v[52:53], v[2:3] op_sel:[0,0,1] op_sel_hi:[1,1,0]
	v_pk_fma_f32 v[2:3], v[100:101], v[52:53], v[2:3] op_sel:[0,0,1] op_sel_hi:[1,1,0] neg_lo:[0,0,1] neg_hi:[0,0,1]
	v_pk_fma_f32 v[18:19], v[18:19], 2.0, v[30:31] op_sel_hi:[1,0,1] neg_lo:[0,0,1] neg_hi:[0,0,1]
	v_mov_b32_e32 v25, v3
	v_pk_mul_f32 v[2:3], v[142:143], v[54:55] op_sel_hi:[0,1]
	v_pk_fma_f32 v[26:27], v[20:21], v[54:55], v[2:3] op_sel:[0,0,1] op_sel_hi:[1,1,0]
	v_pk_fma_f32 v[2:3], v[20:21], v[54:55], v[2:3] op_sel:[0,0,1] op_sel_hi:[0,1,0] neg_lo:[0,0,1] neg_hi:[0,0,1]
	v_mov_b32_e32 v27, v3
	s_waitcnt lgkmcnt(0)
	v_pk_mul_f32 v[2:3], v[148:149], v[56:57] op_sel_hi:[0,1]
	v_pk_fma_f32 v[20:21], v[22:23], v[56:57], v[2:3] op_sel:[0,0,1] op_sel_hi:[1,1,0]
	v_pk_fma_f32 v[2:3], v[22:23], v[56:57], v[2:3] op_sel:[0,0,1] op_sel_hi:[0,1,0] neg_lo:[0,0,1] neg_hi:[0,0,1]
	v_mov_b32_e32 v21, v3
	v_pk_mul_f32 v[2:3], v[226:227], v[58:59] op_sel:[1,0]
	v_pk_add_f32 v[20:21], v[8:9], v[20:21] neg_lo:[0,1] neg_hi:[0,1]
	v_pk_fma_f32 v[22:23], v[226:227], v[58:59], v[2:3] op_sel:[0,0,1] op_sel_hi:[1,1,0]
	v_pk_fma_f32 v[2:3], v[226:227], v[58:59], v[2:3] op_sel:[0,0,1] op_sel_hi:[0,1,0] neg_lo:[0,0,1] neg_hi:[0,0,1]
	v_mov_b32_e32 v23, v3
	v_pk_add_f32 v[2:3], v[0:1], v[4:5] neg_lo:[0,1] neg_hi:[0,1]
	v_pk_add_f32 v[4:5], v[12:13], v[24:25] neg_lo:[0,1] neg_hi:[0,1]
	;; [unrolled: 1-line block ×5, first 2 shown]
	v_pk_fma_f32 v[0:1], v[0:1], 2.0, v[2:3] op_sel_hi:[1,0,1] neg_lo:[0,0,1] neg_hi:[0,0,1]
	v_pk_fma_f32 v[12:13], v[12:13], 2.0, v[4:5] op_sel_hi:[1,0,1] neg_lo:[0,0,1] neg_hi:[0,0,1]
	;; [unrolled: 1-line block ×7, first 2 shown]
	v_pk_add_f32 v[12:13], v[0:1], v[12:13] neg_lo:[0,1] neg_hi:[0,1]
	v_pk_add_f32 v[8:9], v[16:17], v[8:9] neg_lo:[0,1] neg_hi:[0,1]
	;; [unrolled: 1-line block ×4, first 2 shown]
	v_pk_fma_f32 v[0:1], v[0:1], 2.0, v[12:13] op_sel_hi:[1,0,1] neg_lo:[0,0,1] neg_hi:[0,0,1]
	v_pk_fma_f32 v[16:17], v[16:17], 2.0, v[8:9] op_sel_hi:[1,0,1] neg_lo:[0,0,1] neg_hi:[0,0,1]
	;; [unrolled: 1-line block ×4, first 2 shown]
	v_pk_add_f32 v[16:17], v[0:1], v[16:17] neg_lo:[0,1] neg_hi:[0,1]
	v_pk_add_f32 v[18:19], v[28:29], v[18:19] neg_lo:[0,1] neg_hi:[0,1]
	v_pk_fma_f32 v[0:1], v[0:1], 2.0, v[16:17] op_sel_hi:[1,0,1] neg_lo:[0,0,1] neg_hi:[0,0,1]
	v_pk_fma_f32 v[28:29], v[28:29], 2.0, v[18:19] op_sel_hi:[1,0,1] neg_lo:[0,0,1] neg_hi:[0,0,1]
	s_nop 0
	v_pk_add_f32 v[28:29], v[0:1], v[28:29] neg_lo:[0,1] neg_hi:[0,1]
	s_nop 0
	v_pk_fma_f32 v[0:1], v[0:1], 2.0, v[28:29] op_sel_hi:[1,0,1] neg_lo:[0,0,1] neg_hi:[0,0,1]
	ds_write_b64 v92, v[0:1]
	v_pk_add_f32 v[0:1], v[2:3], v[4:5] op_sel:[0,1] op_sel_hi:[1,0]
	v_pk_add_f32 v[4:5], v[2:3], v[4:5] op_sel:[0,1] op_sel_hi:[1,0] neg_lo:[0,1] neg_hi:[0,1]
	s_nop 0
	v_mov_b32_e32 v1, v5
	v_pk_add_f32 v[4:5], v[24:25], v[20:21] op_sel:[0,1] op_sel_hi:[1,0]
	v_pk_add_f32 v[20:21], v[24:25], v[20:21] op_sel:[0,1] op_sel_hi:[1,0] neg_lo:[0,1] neg_hi:[0,1]
	v_pk_fma_f32 v[2:3], v[2:3], 2.0, v[0:1] op_sel_hi:[1,0,1] neg_lo:[0,0,1] neg_hi:[0,0,1]
	v_mov_b32_e32 v5, v21
	v_pk_fma_f32 v[20:21], v[24:25], 2.0, v[4:5] op_sel_hi:[1,0,1] neg_lo:[0,0,1] neg_hi:[0,0,1]
	v_pk_add_f32 v[24:25], v[6:7], v[26:27] op_sel:[0,1] op_sel_hi:[1,0]
	v_pk_add_f32 v[26:27], v[6:7], v[26:27] op_sel:[0,1] op_sel_hi:[1,0] neg_lo:[0,1] neg_hi:[0,1]
	s_nop 0
	v_mov_b32_e32 v25, v27
	v_pk_add_f32 v[26:27], v[30:31], v[22:23] op_sel:[0,1] op_sel_hi:[1,0]
	v_pk_add_f32 v[22:23], v[30:31], v[22:23] op_sel:[0,1] op_sel_hi:[1,0] neg_lo:[0,1] neg_hi:[0,1]
	v_pk_fma_f32 v[6:7], v[6:7], 2.0, v[24:25] op_sel_hi:[1,0,1] neg_lo:[0,0,1] neg_hi:[0,0,1]
	v_mov_b32_e32 v27, v23
	v_pk_fma_f32 v[22:23], v[30:31], 2.0, v[26:27] op_sel_hi:[1,0,1] neg_lo:[0,0,1] neg_hi:[0,0,1]
	v_pk_mul_f32 v[30:31], v[20:21], s[0:1] op_sel_hi:[1,0]
	v_pk_fma_f32 v[20:21], v[20:21], s[0:1], v[2:3] op_sel_hi:[1,0,1] neg_lo:[1,0,0] neg_hi:[1,0,0]
	s_nop 0
	v_pk_add_f32 v[32:33], v[20:21], v[30:31] op_sel:[0,1] op_sel_hi:[1,0]
	v_pk_add_f32 v[20:21], v[20:21], v[30:31] op_sel:[0,1] op_sel_hi:[1,0] neg_lo:[0,1] neg_hi:[0,1]
	v_pk_mul_f32 v[30:31], v[22:23], s[0:1] op_sel_hi:[1,0]
	v_pk_fma_f32 v[22:23], v[22:23], s[0:1], v[6:7] op_sel_hi:[1,0,1] neg_lo:[1,0,0] neg_hi:[1,0,0]
	v_mov_b32_e32 v33, v21
	v_pk_add_f32 v[34:35], v[22:23], v[30:31] op_sel:[0,1] op_sel_hi:[1,0]
	v_pk_add_f32 v[22:23], v[22:23], v[30:31] op_sel:[0,1] op_sel_hi:[1,0] neg_lo:[0,1] neg_hi:[0,1]
	v_pk_fma_f32 v[2:3], v[2:3], 2.0, v[32:33] op_sel_hi:[1,0,1] neg_lo:[0,0,1] neg_hi:[0,0,1]
	v_mov_b32_e32 v35, v23
	v_pk_fma_f32 v[6:7], v[6:7], 2.0, v[34:35] op_sel_hi:[1,0,1] neg_lo:[0,0,1] neg_hi:[0,0,1]
	s_nop 0
	v_pk_fma_f32 v[30:31], v[6:7], s[10:11], v[2:3] op_sel_hi:[1,0,1] neg_lo:[1,0,0] neg_hi:[1,0,0]
	v_pk_mul_f32 v[6:7], v[6:7], s[12:13] op_sel_hi:[1,0]
	s_nop 0
	v_pk_add_f32 v[36:37], v[30:31], v[6:7] op_sel:[0,1] op_sel_hi:[1,0]
	v_pk_add_f32 v[6:7], v[30:31], v[6:7] op_sel:[0,1] op_sel_hi:[1,0] neg_lo:[0,1] neg_hi:[0,1]
	s_nop 0
	v_fmamk_f32 v6, v34, 0x3ec3ef15, v32
	v_mov_b32_e32 v37, v7
	v_fmamk_f32 v7, v23, 0x3ec3ef15, v21
	v_fmac_f32_e32 v6, 0x3f6c835e, v23
	v_pk_add_f32 v[22:23], v[12:13], v[8:9] op_sel:[0,1] op_sel_hi:[1,0]
	v_pk_add_f32 v[8:9], v[12:13], v[8:9] op_sel:[0,1] op_sel_hi:[1,0] neg_lo:[0,1] neg_hi:[0,1]
	v_pk_fma_f32 v[2:3], v[2:3], 2.0, v[36:37] op_sel_hi:[1,0,1] neg_lo:[0,0,1] neg_hi:[0,0,1]
	v_mov_b32_e32 v23, v9
	v_pk_fma_f32 v[8:9], v[12:13], 2.0, v[22:23] op_sel_hi:[1,0,1] neg_lo:[0,0,1] neg_hi:[0,0,1]
	v_pk_add_f32 v[12:13], v[14:15], v[10:11] op_sel:[0,1] op_sel_hi:[1,0]
	v_pk_add_f32 v[10:11], v[14:15], v[10:11] op_sel:[0,1] op_sel_hi:[1,0] neg_lo:[0,1] neg_hi:[0,1]
	v_fmamk_f32 v7, v34, 0xbf6c835e, v7
	v_mov_b32_e32 v13, v11
	v_pk_fma_f32 v[10:11], v[14:15], 2.0, v[12:13] op_sel_hi:[1,0,1] neg_lo:[0,0,1] neg_hi:[0,0,1]
	v_fma_f32 v20, v32, 2.0, -v6
	v_pk_mul_f32 v[14:15], v[10:11], s[0:1] op_sel_hi:[1,0]
	v_pk_fma_f32 v[10:11], v[10:11], s[0:1], v[8:9] op_sel_hi:[1,0,1] neg_lo:[1,0,0] neg_hi:[1,0,0]
	v_fma_f32 v21, v21, 2.0, -v7
	v_pk_add_f32 v[30:31], v[10:11], v[14:15] op_sel:[0,1] op_sel_hi:[1,0]
	v_pk_add_f32 v[10:11], v[10:11], v[14:15] op_sel:[0,1] op_sel_hi:[1,0] neg_lo:[0,1] neg_hi:[0,1]
	s_nop 0
	v_mov_b32_e32 v31, v11
	v_pk_fma_f32 v[8:9], v[8:9], 2.0, v[30:31] op_sel_hi:[1,0,1] neg_lo:[0,0,1] neg_hi:[0,0,1]
	ds_write2_b64 v61, v[2:3], v[8:9] offset0:34 offset1:68
	v_pk_mul_f32 v[2:3], v[4:5], s[0:1] op_sel_hi:[1,0]
	v_pk_fma_f32 v[4:5], v[4:5], s[0:1], v[0:1] op_sel_hi:[1,0,1]
	v_pk_fma_f32 v[10:11], v[26:27], s[0:1], v[24:25] op_sel_hi:[1,0,1]
	v_pk_add_f32 v[8:9], v[4:5], v[2:3] op_sel:[0,1] op_sel_hi:[1,0]
	v_pk_add_f32 v[2:3], v[4:5], v[2:3] op_sel:[0,1] op_sel_hi:[1,0] neg_lo:[0,1] neg_hi:[0,1]
	v_pk_mul_f32 v[4:5], v[26:27], s[0:1] op_sel_hi:[1,0]
	v_mov_b32_e32 v9, v3
	v_pk_add_f32 v[14:15], v[10:11], v[4:5] op_sel:[0,1] op_sel_hi:[1,0]
	v_pk_add_f32 v[4:5], v[10:11], v[4:5] op_sel:[0,1] op_sel_hi:[1,0] neg_lo:[0,1] neg_hi:[0,1]
	v_pk_fma_f32 v[0:1], v[0:1], 2.0, v[8:9] op_sel_hi:[1,0,1] neg_lo:[0,0,1] neg_hi:[0,0,1]
	v_mov_b32_e32 v15, v5
	v_pk_fma_f32 v[10:11], v[24:25], 2.0, v[14:15] op_sel_hi:[1,0,1] neg_lo:[0,0,1] neg_hi:[0,0,1]
	v_fmamk_f32 v4, v14, 0x3f6c835e, v8
	v_pk_fma_f32 v[24:25], v[10:11], s[12:13], v[0:1] op_sel_hi:[1,0,1] neg_lo:[1,0,0] neg_hi:[1,0,0]
	v_pk_mul_f32 v[10:11], v[10:11], s[10:11] op_sel_hi:[1,0]
	v_fmamk_f32 v2, v5, 0x3f6c835e, v3
	v_pk_add_f32 v[26:27], v[24:25], v[10:11] op_sel:[0,1] op_sel_hi:[1,0]
	v_pk_add_f32 v[10:11], v[24:25], v[10:11] op_sel:[0,1] op_sel_hi:[1,0] neg_lo:[0,1] neg_hi:[0,1]
	v_fmac_f32_e32 v4, 0x3ec3ef15, v5
	v_fmamk_f32 v5, v14, 0xbec3ef15, v2
	v_mov_b32_e32 v27, v11
	v_fma_f32 v9, v3, 2.0, -v5
	v_pk_add_f32 v[10:11], v[16:17], v[18:19] op_sel:[0,1] op_sel_hi:[1,0]
	v_pk_add_f32 v[2:3], v[16:17], v[18:19] op_sel:[0,1] op_sel_hi:[1,0] neg_lo:[0,1] neg_hi:[0,1]
	v_pk_fma_f32 v[0:1], v[0:1], 2.0, v[26:27] op_sel_hi:[1,0,1] neg_lo:[0,0,1] neg_hi:[0,0,1]
	v_mov_b32_e32 v11, v3
	v_pk_fma_f32 v[2:3], v[16:17], 2.0, v[10:11] op_sel_hi:[1,0,1] neg_lo:[0,0,1] neg_hi:[0,0,1]
	ds_write2_b64 v61, v[0:1], v[2:3] offset0:102 offset1:136
	v_pk_mul_f32 v[0:1], v[12:13], s[0:1] op_sel_hi:[1,0]
	v_pk_fma_f32 v[2:3], v[12:13], s[0:1], v[22:23] op_sel_hi:[1,0,1]
	v_fma_f32 v8, v8, 2.0, -v4
	v_pk_add_f32 v[12:13], v[2:3], v[0:1] op_sel:[0,1] op_sel_hi:[1,0]
	v_pk_add_f32 v[0:1], v[2:3], v[0:1] op_sel:[0,1] op_sel_hi:[1,0] neg_lo:[0,1] neg_hi:[0,1]
	v_add_u32_e32 v3, 0x400, v61
	v_mov_b32_e32 v13, v1
	v_pk_fma_f32 v[0:1], v[22:23], 2.0, v[12:13] op_sel_hi:[1,0,1] neg_lo:[0,0,1] neg_hi:[0,0,1]
	v_add_u32_e32 v2, 0x800, v61
	ds_write2_b64 v61, v[20:21], v[0:1] offset0:170 offset1:204
	ds_write2_b64 v3, v[8:9], v[28:29] offset0:110 offset1:144
	;; [unrolled: 1-line block ×5, first 2 shown]
	ds_write_b64 v61, v[4:5] offset:4080
	s_waitcnt lgkmcnt(0)
	s_barrier
	s_and_b64 exec, exec, vcc
	s_cbranch_execz .LBB0_15
; %bb.14:
	global_load_dwordx2 v[4:5], v170, s[2:3]
	v_mad_u64_u32 v[6:7], s[0:1], s6, v246, 0
	ds_read_b64 v[8:9], v247
	v_mov_b32_e32 v0, s8
	v_mov_b32_e32 v1, s9
	v_mad_u64_u32 v[10:11], s[8:9], s4, v60, 0
	v_mov_b32_e32 v12, v7
	v_mov_b32_e32 v14, v11
	v_mad_u64_u32 v[12:13], s[6:7], s7, v246, v[12:13]
	v_mad_u64_u32 v[14:15], s[6:7], s5, v60, v[14:15]
	v_mov_b32_e32 v7, v12
	v_mov_b32_e32 v11, v14
	v_lshl_add_u64 v[0:1], v[6:7], 3, v[0:1]
	v_lshl_add_u64 v[6:7], v[10:11], 3, v[0:1]
	s_mov_b32 s0, 0x1e1e1e1e
	s_mov_b32 s1, 0x3f5e1e1e
	s_waitcnt vmcnt(0) lgkmcnt(0)
	v_mul_f32_e32 v10, v9, v5
	v_mul_f32_e32 v5, v8, v5
	v_fmac_f32_e32 v10, v8, v4
	v_fma_f32 v8, v4, v9, -v5
	v_cvt_f64_f32_e32 v[4:5], v10
	v_cvt_f64_f32_e32 v[8:9], v8
	v_mul_f64 v[4:5], v[4:5], s[0:1]
	v_mul_f64 v[8:9], v[8:9], s[0:1]
	v_cvt_f32_f64_e32 v4, v[4:5]
	v_cvt_f32_f64_e32 v5, v[8:9]
	global_store_dwordx2 v[6:7], v[4:5], off
	global_load_dwordx2 v[8:9], v170, s[2:3] offset:256
	ds_read2_b64 v[4:7], v61 offset0:32 offset1:64
	v_mad_u64_u32 v[10:11], s[6:7], s4, v245, 0
	v_mov_b32_e32 v12, v11
	v_mad_u64_u32 v[12:13], s[6:7], s5, v245, v[12:13]
	v_mov_b32_e32 v11, v12
	v_lshl_add_u64 v[10:11], v[10:11], 3, v[0:1]
	v_or_b32_e32 v13, 0x60, v60
	s_waitcnt vmcnt(0) lgkmcnt(0)
	v_mul_f32_e32 v12, v5, v9
	v_mul_f32_e32 v9, v4, v9
	v_fmac_f32_e32 v12, v4, v8
	v_fma_f32 v8, v8, v5, -v9
	v_cvt_f64_f32_e32 v[4:5], v12
	v_cvt_f64_f32_e32 v[8:9], v8
	v_mul_f64 v[4:5], v[4:5], s[0:1]
	v_mul_f64 v[8:9], v[8:9], s[0:1]
	v_cvt_f32_f64_e32 v4, v[4:5]
	v_cvt_f32_f64_e32 v5, v[8:9]
	global_store_dwordx2 v[10:11], v[4:5], off
	global_load_dwordx2 v[4:5], v170, s[2:3] offset:512
	v_mad_u64_u32 v[8:9], s[6:7], s4, v171, 0
	v_mov_b32_e32 v10, v9
	v_mad_u64_u32 v[10:11], s[6:7], s5, v171, v[10:11]
	v_mov_b32_e32 v9, v10
	v_lshl_add_u64 v[8:9], v[8:9], 3, v[0:1]
	s_waitcnt vmcnt(0)
	v_mul_f32_e32 v10, v7, v5
	v_mul_f32_e32 v5, v6, v5
	v_fmac_f32_e32 v10, v6, v4
	v_fma_f32 v6, v4, v7, -v5
	v_cvt_f64_f32_e32 v[4:5], v10
	v_cvt_f64_f32_e32 v[6:7], v6
	v_mul_f64 v[4:5], v[4:5], s[0:1]
	v_mul_f64 v[6:7], v[6:7], s[0:1]
	v_cvt_f32_f64_e32 v4, v[4:5]
	v_cvt_f32_f64_e32 v5, v[6:7]
	global_store_dwordx2 v[8:9], v[4:5], off
	global_load_dwordx2 v[8:9], v170, s[2:3] offset:768
	ds_read2_b64 v[4:7], v61 offset0:96 offset1:128
	v_mad_u64_u32 v[10:11], s[6:7], s4, v13, 0
	v_mov_b32_e32 v12, v11
	v_mad_u64_u32 v[12:13], s[6:7], s5, v13, v[12:13]
	v_mov_b32_e32 v11, v12
	v_lshl_add_u64 v[10:11], v[10:11], 3, v[0:1]
	v_or_b32_e32 v13, 0xa0, v60
	s_waitcnt vmcnt(0) lgkmcnt(0)
	v_mul_f32_e32 v12, v5, v9
	v_mul_f32_e32 v9, v4, v9
	v_fmac_f32_e32 v12, v4, v8
	v_fma_f32 v8, v8, v5, -v9
	v_cvt_f64_f32_e32 v[4:5], v12
	v_cvt_f64_f32_e32 v[8:9], v8
	v_mul_f64 v[4:5], v[4:5], s[0:1]
	v_mul_f64 v[8:9], v[8:9], s[0:1]
	v_cvt_f32_f64_e32 v4, v[4:5]
	v_cvt_f32_f64_e32 v5, v[8:9]
	global_store_dwordx2 v[10:11], v[4:5], off
	global_load_dwordx2 v[4:5], v170, s[2:3] offset:1024
	v_or_b32_e32 v11, 0x80, v60
	v_mad_u64_u32 v[8:9], s[6:7], s4, v11, 0
	v_mov_b32_e32 v10, v9
	v_mad_u64_u32 v[10:11], s[6:7], s5, v11, v[10:11]
	v_mov_b32_e32 v9, v10
	v_lshl_add_u64 v[8:9], v[8:9], 3, v[0:1]
	s_waitcnt vmcnt(0)
	v_mul_f32_e32 v10, v7, v5
	v_mul_f32_e32 v5, v6, v5
	v_fmac_f32_e32 v10, v6, v4
	v_fma_f32 v6, v4, v7, -v5
	v_cvt_f64_f32_e32 v[4:5], v10
	v_cvt_f64_f32_e32 v[6:7], v6
	v_mul_f64 v[4:5], v[4:5], s[0:1]
	v_mul_f64 v[6:7], v[6:7], s[0:1]
	v_cvt_f32_f64_e32 v4, v[4:5]
	v_cvt_f32_f64_e32 v5, v[6:7]
	global_store_dwordx2 v[8:9], v[4:5], off
	global_load_dwordx2 v[8:9], v170, s[2:3] offset:1280
	ds_read2_b64 v[4:7], v61 offset0:160 offset1:192
	v_mad_u64_u32 v[10:11], s[6:7], s4, v13, 0
	v_mov_b32_e32 v12, v11
	v_mad_u64_u32 v[12:13], s[6:7], s5, v13, v[12:13]
	v_mov_b32_e32 v11, v12
	v_lshl_add_u64 v[10:11], v[10:11], 3, v[0:1]
	v_or_b32_e32 v13, 0xe0, v60
	s_waitcnt vmcnt(0) lgkmcnt(0)
	v_mul_f32_e32 v12, v5, v9
	v_mul_f32_e32 v9, v4, v9
	v_fmac_f32_e32 v12, v4, v8
	v_fma_f32 v8, v8, v5, -v9
	v_cvt_f64_f32_e32 v[4:5], v12
	v_cvt_f64_f32_e32 v[8:9], v8
	v_mul_f64 v[4:5], v[4:5], s[0:1]
	v_mul_f64 v[8:9], v[8:9], s[0:1]
	v_cvt_f32_f64_e32 v4, v[4:5]
	v_cvt_f32_f64_e32 v5, v[8:9]
	global_store_dwordx2 v[10:11], v[4:5], off
	global_load_dwordx2 v[4:5], v170, s[2:3] offset:1536
	v_or_b32_e32 v11, 0xc0, v60
	v_mad_u64_u32 v[8:9], s[6:7], s4, v11, 0
	v_mov_b32_e32 v10, v9
	v_mad_u64_u32 v[10:11], s[6:7], s5, v11, v[10:11]
	v_mov_b32_e32 v9, v10
	v_lshl_add_u64 v[8:9], v[8:9], 3, v[0:1]
	s_waitcnt vmcnt(0)
	v_mul_f32_e32 v10, v7, v5
	v_mul_f32_e32 v5, v6, v5
	v_fmac_f32_e32 v10, v6, v4
	v_fma_f32 v6, v4, v7, -v5
	v_cvt_f64_f32_e32 v[4:5], v10
	v_cvt_f64_f32_e32 v[6:7], v6
	v_mul_f64 v[4:5], v[4:5], s[0:1]
	v_mul_f64 v[6:7], v[6:7], s[0:1]
	v_cvt_f32_f64_e32 v4, v[4:5]
	v_cvt_f32_f64_e32 v5, v[6:7]
	global_store_dwordx2 v[8:9], v[4:5], off
	global_load_dwordx2 v[8:9], v170, s[2:3] offset:1792
	ds_read2_b64 v[4:7], v3 offset0:96 offset1:128
	v_mad_u64_u32 v[10:11], s[6:7], s4, v13, 0
	v_mov_b32_e32 v12, v11
	v_mad_u64_u32 v[12:13], s[6:7], s5, v13, v[12:13]
	v_mov_b32_e32 v11, v12
	v_lshl_add_u64 v[10:11], v[10:11], 3, v[0:1]
	s_waitcnt vmcnt(0) lgkmcnt(0)
	v_mul_f32_e32 v3, v5, v9
	v_mul_f32_e32 v9, v4, v9
	v_fmac_f32_e32 v3, v4, v8
	v_fma_f32 v8, v8, v5, -v9
	v_cvt_f64_f32_e32 v[4:5], v3
	v_cvt_f64_f32_e32 v[8:9], v8
	v_mul_f64 v[4:5], v[4:5], s[0:1]
	v_mul_f64 v[8:9], v[8:9], s[0:1]
	v_cvt_f32_f64_e32 v4, v[4:5]
	v_cvt_f32_f64_e32 v5, v[8:9]
	global_store_dwordx2 v[10:11], v[4:5], off
	global_load_dwordx2 v[4:5], v170, s[2:3] offset:2048
	v_or_b32_e32 v3, 0x100, v60
	v_mad_u64_u32 v[8:9], s[6:7], s4, v3, 0
	v_mov_b32_e32 v10, v9
	v_mad_u64_u32 v[10:11], s[6:7], s5, v3, v[10:11]
	v_mov_b32_e32 v9, v10
	v_lshl_add_u64 v[8:9], v[8:9], 3, v[0:1]
	s_waitcnt vmcnt(0)
	v_mul_f32_e32 v3, v7, v5
	v_mul_f32_e32 v5, v6, v5
	v_fmac_f32_e32 v3, v6, v4
	v_fma_f32 v6, v4, v7, -v5
	v_cvt_f64_f32_e32 v[4:5], v3
	v_cvt_f64_f32_e32 v[6:7], v6
	v_mul_f64 v[4:5], v[4:5], s[0:1]
	v_mul_f64 v[6:7], v[6:7], s[0:1]
	v_cvt_f32_f64_e32 v4, v[4:5]
	v_cvt_f32_f64_e32 v5, v[6:7]
	global_store_dwordx2 v[8:9], v[4:5], off
	global_load_dwordx2 v[8:9], v170, s[2:3] offset:2304
	ds_read2_b64 v[4:7], v2 offset0:32 offset1:64
	v_or_b32_e32 v3, 0x120, v60
	v_mad_u64_u32 v[10:11], s[6:7], s4, v3, 0
	v_mov_b32_e32 v12, v11
	v_mad_u64_u32 v[12:13], s[6:7], s5, v3, v[12:13]
	v_mov_b32_e32 v11, v12
	v_lshl_add_u64 v[10:11], v[10:11], 3, v[0:1]
	s_waitcnt vmcnt(0) lgkmcnt(0)
	v_mul_f32_e32 v3, v5, v9
	v_mul_f32_e32 v9, v4, v9
	v_fmac_f32_e32 v3, v4, v8
	v_fma_f32 v8, v8, v5, -v9
	v_cvt_f64_f32_e32 v[4:5], v3
	v_cvt_f64_f32_e32 v[8:9], v8
	v_mul_f64 v[4:5], v[4:5], s[0:1]
	v_mul_f64 v[8:9], v[8:9], s[0:1]
	v_cvt_f32_f64_e32 v4, v[4:5]
	v_cvt_f32_f64_e32 v5, v[8:9]
	global_store_dwordx2 v[10:11], v[4:5], off
	global_load_dwordx2 v[4:5], v170, s[2:3] offset:2560
	v_or_b32_e32 v3, 0x140, v60
	v_mad_u64_u32 v[8:9], s[6:7], s4, v3, 0
	v_mov_b32_e32 v10, v9
	v_mad_u64_u32 v[10:11], s[6:7], s5, v3, v[10:11]
	v_mov_b32_e32 v9, v10
	v_lshl_add_u64 v[8:9], v[8:9], 3, v[0:1]
	s_waitcnt vmcnt(0)
	v_mul_f32_e32 v3, v7, v5
	v_mul_f32_e32 v5, v6, v5
	v_fmac_f32_e32 v3, v6, v4
	v_fma_f32 v6, v4, v7, -v5
	v_cvt_f64_f32_e32 v[4:5], v3
	v_cvt_f64_f32_e32 v[6:7], v6
	v_mul_f64 v[4:5], v[4:5], s[0:1]
	v_mul_f64 v[6:7], v[6:7], s[0:1]
	v_cvt_f32_f64_e32 v4, v[4:5]
	v_cvt_f32_f64_e32 v5, v[6:7]
	global_store_dwordx2 v[8:9], v[4:5], off
	global_load_dwordx2 v[8:9], v170, s[2:3] offset:2816
	ds_read2_b64 v[4:7], v2 offset0:96 offset1:128
	v_or_b32_e32 v3, 0x160, v60
	v_mad_u64_u32 v[10:11], s[6:7], s4, v3, 0
	v_mov_b32_e32 v12, v11
	v_mad_u64_u32 v[12:13], s[6:7], s5, v3, v[12:13]
	v_mov_b32_e32 v11, v12
	v_lshl_add_u64 v[10:11], v[10:11], 3, v[0:1]
	v_or_b32_e32 v12, 0x200, v60
	v_lshlrev_b32_e32 v13, 3, v12
	s_waitcnt vmcnt(0) lgkmcnt(0)
	v_mul_f32_e32 v3, v5, v9
	v_mul_f32_e32 v9, v4, v9
	v_fmac_f32_e32 v3, v4, v8
	v_fma_f32 v8, v8, v5, -v9
	v_cvt_f64_f32_e32 v[4:5], v3
	v_cvt_f64_f32_e32 v[8:9], v8
	v_mul_f64 v[4:5], v[4:5], s[0:1]
	v_mul_f64 v[8:9], v[8:9], s[0:1]
	v_cvt_f32_f64_e32 v4, v[4:5]
	v_cvt_f32_f64_e32 v5, v[8:9]
	global_store_dwordx2 v[10:11], v[4:5], off
	global_load_dwordx2 v[4:5], v170, s[2:3] offset:3072
	v_or_b32_e32 v3, 0x180, v60
	v_mad_u64_u32 v[8:9], s[6:7], s4, v3, 0
	v_mov_b32_e32 v10, v9
	v_mad_u64_u32 v[10:11], s[6:7], s5, v3, v[10:11]
	v_mov_b32_e32 v9, v10
	v_lshl_add_u64 v[8:9], v[8:9], 3, v[0:1]
	v_or_b32_e32 v11, 0x1a0, v60
	s_waitcnt vmcnt(0)
	v_mul_f32_e32 v3, v7, v5
	v_mul_f32_e32 v5, v6, v5
	v_fmac_f32_e32 v3, v6, v4
	v_fma_f32 v6, v4, v7, -v5
	v_cvt_f64_f32_e32 v[4:5], v3
	v_cvt_f64_f32_e32 v[6:7], v6
	v_mul_f64 v[4:5], v[4:5], s[0:1]
	v_mul_f64 v[6:7], v[6:7], s[0:1]
	v_cvt_f32_f64_e32 v4, v[4:5]
	v_cvt_f32_f64_e32 v5, v[6:7]
	global_store_dwordx2 v[8:9], v[4:5], off
	global_load_dwordx2 v[6:7], v170, s[2:3] offset:3328
	ds_read2_b64 v[2:5], v2 offset0:160 offset1:192
	v_mad_u64_u32 v[8:9], s[6:7], s4, v11, 0
	v_mov_b32_e32 v10, v9
	v_mad_u64_u32 v[10:11], s[6:7], s5, v11, v[10:11]
	v_mov_b32_e32 v9, v10
	v_lshl_add_u64 v[8:9], v[8:9], 3, v[0:1]
	v_or_b32_e32 v11, 0x1e0, v60
	s_waitcnt vmcnt(0) lgkmcnt(0)
	v_mul_f32_e32 v10, v3, v7
	v_mul_f32_e32 v7, v2, v7
	v_fmac_f32_e32 v10, v2, v6
	v_fma_f32 v6, v6, v3, -v7
	v_cvt_f64_f32_e32 v[2:3], v10
	v_cvt_f64_f32_e32 v[6:7], v6
	v_mul_f64 v[2:3], v[2:3], s[0:1]
	v_mul_f64 v[6:7], v[6:7], s[0:1]
	v_cvt_f32_f64_e32 v2, v[2:3]
	v_cvt_f32_f64_e32 v3, v[6:7]
	global_store_dwordx2 v[8:9], v[2:3], off
	global_load_dwordx2 v[2:3], v170, s[2:3] offset:3584
	v_or_b32_e32 v9, 0x1c0, v60
	v_mad_u64_u32 v[6:7], s[6:7], s4, v9, 0
	v_mov_b32_e32 v8, v7
	v_mad_u64_u32 v[8:9], s[6:7], s5, v9, v[8:9]
	v_mov_b32_e32 v7, v8
	v_lshl_add_u64 v[6:7], v[6:7], 3, v[0:1]
	s_waitcnt vmcnt(0)
	v_mul_f32_e32 v8, v5, v3
	v_mul_f32_e32 v3, v4, v3
	v_fmac_f32_e32 v8, v4, v2
	v_fma_f32 v4, v2, v5, -v3
	v_cvt_f64_f32_e32 v[2:3], v8
	v_cvt_f64_f32_e32 v[4:5], v4
	v_mul_f64 v[2:3], v[2:3], s[0:1]
	v_mul_f64 v[4:5], v[4:5], s[0:1]
	v_cvt_f32_f64_e32 v2, v[2:3]
	v_cvt_f32_f64_e32 v3, v[4:5]
	global_store_dwordx2 v[6:7], v[2:3], off
	global_load_dwordx2 v[6:7], v170, s[2:3] offset:3840
	v_add_u32_e32 v2, 0xc00, v61
	ds_read2_b64 v[2:5], v2 offset0:96 offset1:128
	v_mad_u64_u32 v[8:9], s[6:7], s4, v11, 0
	v_mov_b32_e32 v10, v9
	v_mad_u64_u32 v[10:11], s[6:7], s5, v11, v[10:11]
	v_mov_b32_e32 v9, v10
	v_lshl_add_u64 v[8:9], v[8:9], 3, v[0:1]
	s_waitcnt vmcnt(0) lgkmcnt(0)
	v_mul_f32_e32 v10, v3, v7
	v_mul_f32_e32 v7, v2, v7
	v_fmac_f32_e32 v10, v2, v6
	v_fma_f32 v6, v6, v3, -v7
	v_cvt_f64_f32_e32 v[2:3], v10
	v_cvt_f64_f32_e32 v[6:7], v6
	v_mul_f64 v[2:3], v[2:3], s[0:1]
	v_mul_f64 v[6:7], v[6:7], s[0:1]
	v_cvt_f32_f64_e32 v2, v[2:3]
	v_cvt_f32_f64_e32 v3, v[6:7]
	global_store_dwordx2 v[8:9], v[2:3], off
	global_load_dwordx2 v[2:3], v13, s[2:3]
	v_mad_u64_u32 v[6:7], s[2:3], s4, v12, 0
	v_mov_b32_e32 v8, v7
	v_mad_u64_u32 v[8:9], s[2:3], s5, v12, v[8:9]
	v_mov_b32_e32 v7, v8
	v_lshl_add_u64 v[0:1], v[6:7], 3, v[0:1]
	s_waitcnt vmcnt(0)
	v_mul_f32_e32 v8, v5, v3
	v_mul_f32_e32 v3, v4, v3
	v_fmac_f32_e32 v8, v4, v2
	v_fma_f32 v4, v2, v5, -v3
	v_cvt_f64_f32_e32 v[2:3], v8
	v_cvt_f64_f32_e32 v[4:5], v4
	v_mul_f64 v[2:3], v[2:3], s[0:1]
	v_mul_f64 v[4:5], v[4:5], s[0:1]
	v_cvt_f32_f64_e32 v2, v[2:3]
	v_cvt_f32_f64_e32 v3, v[4:5]
	global_store_dwordx2 v[0:1], v[2:3], off
.LBB0_15:
	s_endpgm
	.section	.rodata,"a",@progbits
	.p2align	6, 0x0
	.amdhsa_kernel bluestein_single_back_len544_dim1_sp_op_CI_CI
		.amdhsa_group_segment_fixed_size 13056
		.amdhsa_private_segment_fixed_size 0
		.amdhsa_kernarg_size 104
		.amdhsa_user_sgpr_count 2
		.amdhsa_user_sgpr_dispatch_ptr 0
		.amdhsa_user_sgpr_queue_ptr 0
		.amdhsa_user_sgpr_kernarg_segment_ptr 1
		.amdhsa_user_sgpr_dispatch_id 0
		.amdhsa_user_sgpr_kernarg_preload_length 0
		.amdhsa_user_sgpr_kernarg_preload_offset 0
		.amdhsa_user_sgpr_private_segment_size 0
		.amdhsa_uses_dynamic_stack 0
		.amdhsa_enable_private_segment 0
		.amdhsa_system_sgpr_workgroup_id_x 1
		.amdhsa_system_sgpr_workgroup_id_y 0
		.amdhsa_system_sgpr_workgroup_id_z 0
		.amdhsa_system_sgpr_workgroup_info 0
		.amdhsa_system_vgpr_workitem_id 0
		.amdhsa_next_free_vgpr 282
		.amdhsa_next_free_sgpr 58
		.amdhsa_accum_offset 256
		.amdhsa_reserve_vcc 1
		.amdhsa_float_round_mode_32 0
		.amdhsa_float_round_mode_16_64 0
		.amdhsa_float_denorm_mode_32 3
		.amdhsa_float_denorm_mode_16_64 3
		.amdhsa_dx10_clamp 1
		.amdhsa_ieee_mode 1
		.amdhsa_fp16_overflow 0
		.amdhsa_tg_split 0
		.amdhsa_exception_fp_ieee_invalid_op 0
		.amdhsa_exception_fp_denorm_src 0
		.amdhsa_exception_fp_ieee_div_zero 0
		.amdhsa_exception_fp_ieee_overflow 0
		.amdhsa_exception_fp_ieee_underflow 0
		.amdhsa_exception_fp_ieee_inexact 0
		.amdhsa_exception_int_div_zero 0
	.end_amdhsa_kernel
	.text
.Lfunc_end0:
	.size	bluestein_single_back_len544_dim1_sp_op_CI_CI, .Lfunc_end0-bluestein_single_back_len544_dim1_sp_op_CI_CI
                                        ; -- End function
	.section	.AMDGPU.csdata,"",@progbits
; Kernel info:
; codeLenInByte = 18508
; NumSgprs: 64
; NumVgprs: 256
; NumAgprs: 26
; TotalNumVgprs: 282
; ScratchSize: 0
; MemoryBound: 0
; FloatMode: 240
; IeeeMode: 1
; LDSByteSize: 13056 bytes/workgroup (compile time only)
; SGPRBlocks: 7
; VGPRBlocks: 35
; NumSGPRsForWavesPerEU: 64
; NumVGPRsForWavesPerEU: 282
; AccumOffset: 256
; Occupancy: 1
; WaveLimiterHint : 1
; COMPUTE_PGM_RSRC2:SCRATCH_EN: 0
; COMPUTE_PGM_RSRC2:USER_SGPR: 2
; COMPUTE_PGM_RSRC2:TRAP_HANDLER: 0
; COMPUTE_PGM_RSRC2:TGID_X_EN: 1
; COMPUTE_PGM_RSRC2:TGID_Y_EN: 0
; COMPUTE_PGM_RSRC2:TGID_Z_EN: 0
; COMPUTE_PGM_RSRC2:TIDIG_COMP_CNT: 0
; COMPUTE_PGM_RSRC3_GFX90A:ACCUM_OFFSET: 63
; COMPUTE_PGM_RSRC3_GFX90A:TG_SPLIT: 0
	.text
	.p2alignl 6, 3212836864
	.fill 256, 4, 3212836864
	.type	__hip_cuid_8e06153c6cf88a07,@object ; @__hip_cuid_8e06153c6cf88a07
	.section	.bss,"aw",@nobits
	.globl	__hip_cuid_8e06153c6cf88a07
__hip_cuid_8e06153c6cf88a07:
	.byte	0                               ; 0x0
	.size	__hip_cuid_8e06153c6cf88a07, 1

	.ident	"AMD clang version 19.0.0git (https://github.com/RadeonOpenCompute/llvm-project roc-6.4.0 25133 c7fe45cf4b819c5991fe208aaa96edf142730f1d)"
	.section	".note.GNU-stack","",@progbits
	.addrsig
	.addrsig_sym __hip_cuid_8e06153c6cf88a07
	.amdgpu_metadata
---
amdhsa.kernels:
  - .agpr_count:     26
    .args:
      - .actual_access:  read_only
        .address_space:  global
        .offset:         0
        .size:           8
        .value_kind:     global_buffer
      - .actual_access:  read_only
        .address_space:  global
        .offset:         8
        .size:           8
        .value_kind:     global_buffer
      - .actual_access:  read_only
        .address_space:  global
        .offset:         16
        .size:           8
        .value_kind:     global_buffer
      - .actual_access:  read_only
        .address_space:  global
        .offset:         24
        .size:           8
        .value_kind:     global_buffer
      - .actual_access:  read_only
        .address_space:  global
        .offset:         32
        .size:           8
        .value_kind:     global_buffer
      - .offset:         40
        .size:           8
        .value_kind:     by_value
      - .address_space:  global
        .offset:         48
        .size:           8
        .value_kind:     global_buffer
      - .address_space:  global
        .offset:         56
        .size:           8
        .value_kind:     global_buffer
      - .address_space:  global
        .offset:         64
        .size:           8
        .value_kind:     global_buffer
      - .address_space:  global
        .offset:         72
        .size:           8
        .value_kind:     global_buffer
      - .offset:         80
        .size:           4
        .value_kind:     by_value
      - .address_space:  global
        .offset:         88
        .size:           8
        .value_kind:     global_buffer
      - .address_space:  global
        .offset:         96
        .size:           8
        .value_kind:     global_buffer
    .group_segment_fixed_size: 13056
    .kernarg_segment_align: 8
    .kernarg_segment_size: 104
    .language:       OpenCL C
    .language_version:
      - 2
      - 0
    .max_flat_workgroup_size: 102
    .name:           bluestein_single_back_len544_dim1_sp_op_CI_CI
    .private_segment_fixed_size: 0
    .sgpr_count:     64
    .sgpr_spill_count: 0
    .symbol:         bluestein_single_back_len544_dim1_sp_op_CI_CI.kd
    .uniform_work_group_size: 1
    .uses_dynamic_stack: false
    .vgpr_count:     282
    .vgpr_spill_count: 0
    .wavefront_size: 64
amdhsa.target:   amdgcn-amd-amdhsa--gfx950
amdhsa.version:
  - 1
  - 2
...

	.end_amdgpu_metadata
